;; amdgpu-corpus repo=ROCm/rocFFT kind=compiled arch=gfx1030 opt=O3
	.text
	.amdgcn_target "amdgcn-amd-amdhsa--gfx1030"
	.amdhsa_code_object_version 6
	.protected	bluestein_single_back_len1152_dim1_half_op_CI_CI ; -- Begin function bluestein_single_back_len1152_dim1_half_op_CI_CI
	.globl	bluestein_single_back_len1152_dim1_half_op_CI_CI
	.p2align	8
	.type	bluestein_single_back_len1152_dim1_half_op_CI_CI,@function
bluestein_single_back_len1152_dim1_half_op_CI_CI: ; @bluestein_single_back_len1152_dim1_half_op_CI_CI
; %bb.0:
	s_load_dwordx4 s[16:19], s[4:5], 0x28
	v_mul_u32_u24_e32 v1, 0x1c8, v0
	v_mov_b32_e32 v18, 0
	s_mov_b32 s0, exec_lo
	v_lshrrev_b32_e32 v1, 16, v1
	v_add_nc_u32_e32 v17, s6, v1
	s_waitcnt lgkmcnt(0)
	v_cmpx_gt_u64_e64 s[16:17], v[17:18]
	s_cbranch_execz .LBB0_18
; %bb.1:
	s_clause 0x1
	s_load_dwordx4 s[0:3], s[4:5], 0x18
	s_load_dwordx4 s[12:15], s[4:5], 0x0
	v_mul_lo_u16 v1, 0x90, v1
	s_load_dwordx2 s[4:5], s[4:5], 0x38
	v_sub_nc_u16 v10, v0, v1
	v_and_b32_e32 v38, 0xffff, v10
	v_lshlrev_b32_e32 v41, 2, v38
	s_waitcnt lgkmcnt(0)
	s_load_dwordx4 s[8:11], s[0:1], 0x0
	s_clause 0x1
	global_load_dword v40, v41, s[12:13]
	global_load_dword v39, v41, s[12:13] offset:1152
	v_add_nc_u32_e32 v14, 0xc00, v41
	s_waitcnt lgkmcnt(0)
	v_mad_u64_u32 v[0:1], null, s10, v17, 0
	v_mad_u64_u32 v[2:3], null, s8, v38, 0
	s_mul_hi_u32 s1, s8, 0x480
	s_mul_i32 s6, s8, 0x480
	v_mad_u64_u32 v[4:5], null, s11, v17, v[1:2]
	v_mad_u64_u32 v[5:6], null, s9, v38, v[3:4]
	v_mov_b32_e32 v1, v4
	v_add_co_u32 v6, s0, s12, v41
	v_add_co_ci_u32_e64 v7, null, s13, 0, s0
	v_lshlrev_b64 v[0:1], 2, v[0:1]
	v_mov_b32_e32 v3, v5
	s_mul_i32 s0, s9, 0x480
	s_add_i32 s1, s1, s0
	s_mul_i32 s0, s9, 0xfffff4c0
	v_lshlrev_b64 v[2:3], 2, v[2:3]
	v_add_co_u32 v0, vcc_lo, s18, v0
	v_add_co_ci_u32_e32 v1, vcc_lo, s19, v1, vcc_lo
	s_sub_i32 s0, s0, s8
	v_add_co_u32 v0, vcc_lo, v0, v2
	v_add_co_ci_u32_e32 v1, vcc_lo, v1, v3, vcc_lo
	v_add_co_u32 v2, vcc_lo, v0, s6
	v_add_co_ci_u32_e32 v3, vcc_lo, s1, v1, vcc_lo
	s_clause 0x1
	global_load_dword v8, v[0:1], off
	global_load_dword v9, v[2:3], off
	v_add_co_u32 v4, vcc_lo, v2, s6
	v_add_co_ci_u32_e32 v5, vcc_lo, s1, v3, vcc_lo
	v_add_co_u32 v0, vcc_lo, v4, s6
	v_add_co_ci_u32_e32 v1, vcc_lo, s1, v5, vcc_lo
	;; [unrolled: 2-line block ×3, first 2 shown]
	v_mad_u64_u32 v[6:7], null, 0xfffff4c0, s8, v[0:1]
	global_load_dword v11, v[4:5], off
	s_clause 0x1
	global_load_dword v34, v41, s[12:13] offset:1728
	global_load_dword v37, v[2:3], off offset:256
	global_load_dword v12, v[0:1], off
	s_clause 0x1
	global_load_dword v36, v[2:3], off offset:1408
	global_load_dword v35, v41, s[12:13] offset:576
	v_add_nc_u32_e32 v7, s0, v7
	v_add_co_u32 v0, vcc_lo, v6, s6
	v_add_co_ci_u32_e32 v1, vcc_lo, s1, v7, vcc_lo
	global_load_dword v6, v[6:7], off
	v_add_co_u32 v4, vcc_lo, v0, s6
	v_add_co_ci_u32_e32 v5, vcc_lo, s1, v1, vcc_lo
	global_load_dword v7, v[0:1], off
	;; [unrolled: 3-line block ×3, first 2 shown]
	global_load_dword v0, v[0:1], off
	s_clause 0x1
	global_load_dword v32, v[2:3], off offset:1984
	global_load_dword v33, v[2:3], off offset:832
	v_add_nc_u32_e32 v2, 0x400, v41
	v_add_nc_u32_e32 v5, 0x800, v41
	s_load_dwordx4 s[8:11], s[2:3], 0x0
	v_cmp_gt_u16_e32 vcc_lo, 0x60, v10
	s_waitcnt vmcnt(13)
	v_lshrrev_b32_e32 v1, 16, v8
	v_mul_f16_sdwa v3, v40, v8 dst_sel:DWORD dst_unused:UNUSED_PAD src0_sel:WORD_1 src1_sel:DWORD
	s_waitcnt vmcnt(12)
	v_lshrrev_b32_e32 v15, 16, v9
	v_mul_f16_sdwa v16, v39, v9 dst_sel:DWORD dst_unused:UNUSED_PAD src0_sel:WORD_1 src1_sel:DWORD
	v_mul_f16_sdwa v13, v40, v1 dst_sel:DWORD dst_unused:UNUSED_PAD src0_sel:WORD_1 src1_sel:DWORD
	v_fma_f16 v1, v40, v1, -v3
	v_fmac_f16_e32 v13, v40, v8
	v_mul_f16_sdwa v8, v39, v15 dst_sel:DWORD dst_unused:UNUSED_PAD src0_sel:WORD_1 src1_sel:DWORD
	v_fma_f16 v15, v39, v15, -v16
	s_waitcnt vmcnt(11)
	v_lshrrev_b32_e32 v3, 16, v11
	v_pack_b32_f16 v1, v13, v1
	s_waitcnt vmcnt(9)
	v_mul_f16_sdwa v16, v37, v11 dst_sel:DWORD dst_unused:UNUSED_PAD src0_sel:WORD_1 src1_sel:DWORD
	v_fmac_f16_e32 v8, v39, v9
	s_waitcnt vmcnt(8)
	v_lshrrev_b32_e32 v9, 16, v12
	v_mul_f16_sdwa v13, v37, v3 dst_sel:DWORD dst_unused:UNUSED_PAD src0_sel:WORD_1 src1_sel:DWORD
	s_waitcnt vmcnt(7)
	v_mul_f16_sdwa v18, v36, v12 dst_sel:DWORD dst_unused:UNUSED_PAD src0_sel:WORD_1 src1_sel:DWORD
	v_fma_f16 v3, v37, v3, -v16
	v_pack_b32_f16 v8, v8, v15
	v_fmac_f16_e32 v13, v37, v11
	v_mul_f16_sdwa v11, v36, v9 dst_sel:DWORD dst_unused:UNUSED_PAD src0_sel:WORD_1 src1_sel:DWORD
	v_fma_f16 v9, v36, v9, -v18
	ds_write_b32 v41, v8 offset:1152
	s_waitcnt vmcnt(5)
	v_lshrrev_b32_e32 v15, 16, v6
	v_pack_b32_f16 v3, v13, v3
	v_fmac_f16_e32 v11, v36, v12
	v_mul_f16_sdwa v8, v35, v6 dst_sel:DWORD dst_unused:UNUSED_PAD src0_sel:WORD_1 src1_sel:DWORD
	v_mul_f16_sdwa v12, v35, v15 dst_sel:DWORD dst_unused:UNUSED_PAD src0_sel:WORD_1 src1_sel:DWORD
	ds_write_b32 v41, v3 offset:2304
	s_waitcnt vmcnt(4)
	v_lshrrev_b32_e32 v3, 16, v7
	v_mul_f16_sdwa v13, v34, v7 dst_sel:DWORD dst_unused:UNUSED_PAD src0_sel:WORD_1 src1_sel:DWORD
	v_fma_f16 v8, v35, v15, -v8
	v_fmac_f16_e32 v12, v35, v6
	s_waitcnt vmcnt(3)
	v_lshrrev_b32_e32 v6, 16, v4
	s_waitcnt vmcnt(2)
	v_lshrrev_b32_e32 v16, 16, v0
	v_mul_f16_sdwa v15, v34, v3 dst_sel:DWORD dst_unused:UNUSED_PAD src0_sel:WORD_1 src1_sel:DWORD
	v_fma_f16 v3, v34, v3, -v13
	s_waitcnt vmcnt(0)
	v_mul_f16_sdwa v13, v33, v4 dst_sel:DWORD dst_unused:UNUSED_PAD src0_sel:WORD_1 src1_sel:DWORD
	v_mul_f16_sdwa v18, v33, v6 dst_sel:DWORD dst_unused:UNUSED_PAD src0_sel:WORD_1 src1_sel:DWORD
	;; [unrolled: 1-line block ×4, first 2 shown]
	v_fmac_f16_e32 v15, v34, v7
	v_fma_f16 v6, v33, v6, -v13
	v_fmac_f16_e32 v18, v33, v4
	v_fma_f16 v4, v32, v16, -v19
	v_fmac_f16_e32 v20, v32, v0
	v_pack_b32_f16 v0, v11, v9
	v_pack_b32_f16 v7, v12, v8
	;; [unrolled: 1-line block ×5, first 2 shown]
	ds_write_b32 v41, v0 offset:3456
	ds_write2_b32 v41, v1, v7 offset1:144
	ds_write_b32 v41, v3 offset:1728
	ds_write_b32 v41, v6 offset:2880
	ds_write_b32 v41, v4 offset:4032
	s_waitcnt lgkmcnt(0)
	s_barrier
	buffer_gl0_inv
	ds_read2_b32 v[0:1], v41 offset1:144
	ds_read2_b32 v[2:3], v2 offset0:32 offset1:176
	ds_read2_b32 v[4:5], v5 offset0:64 offset1:208
	;; [unrolled: 1-line block ×3, first 2 shown]
	v_mov_b32_e32 v8, 2
	v_lshlrev_b16 v9, 2, v10
	v_add_co_u32 v15, s0, 0x90, v38
	v_add_co_ci_u32_e64 v11, null, 0, 0, s0
	v_lshlrev_b32_sdwa v26, v8, v9 dst_sel:DWORD dst_unused:UNUSED_PAD src0_sel:DWORD src1_sel:WORD_0
	v_lshlrev_b32_e32 v28, 4, v15
	v_add_nc_u32_e32 v11, 0x600, v41
	s_waitcnt lgkmcnt(0)
	s_barrier
	buffer_gl0_inv
                                        ; implicit-def: $vgpr10
	v_pk_add_f16 v5, v1, v5 neg_lo:[0,1] neg_hi:[0,1]
	v_pk_add_f16 v7, v3, v7 neg_lo:[0,1] neg_hi:[0,1]
	v_pk_add_f16 v8, v0, v4 neg_lo:[0,1] neg_hi:[0,1]
	v_pk_add_f16 v6, v2, v6 neg_lo:[0,1] neg_hi:[0,1]
	v_pk_fma_f16 v1, v1, 2.0, v5 op_sel_hi:[1,0,1] neg_lo:[0,0,1] neg_hi:[0,0,1]
	v_pk_fma_f16 v3, v3, 2.0, v7 op_sel_hi:[1,0,1] neg_lo:[0,0,1] neg_hi:[0,0,1]
	v_lshrrev_b32_e32 v13, 16, v8
	v_lshrrev_b32_e32 v12, 16, v5
	v_pk_fma_f16 v0, v0, 2.0, v8 op_sel_hi:[1,0,1] neg_lo:[0,0,1] neg_hi:[0,0,1]
	v_pk_fma_f16 v16, v2, 2.0, v6 op_sel_hi:[1,0,1] neg_lo:[0,0,1] neg_hi:[0,0,1]
	v_sub_f16_sdwa v18, v8, v6 dst_sel:DWORD dst_unused:UNUSED_PAD src0_sel:DWORD src1_sel:WORD_1
	v_pk_add_f16 v2, v1, v3 neg_lo:[0,1] neg_hi:[0,1]
	v_add_f16_e32 v3, v13, v6
	v_sub_f16_sdwa v4, v5, v7 dst_sel:DWORD dst_unused:UNUSED_PAD src0_sel:DWORD src1_sel:WORD_1
	v_add_f16_e32 v9, v12, v7
	v_pk_add_f16 v7, v0, v16 neg_lo:[0,1] neg_hi:[0,1]
	v_fma_f16 v6, v8, 2.0, -v18
	v_fma_f16 v13, v13, 2.0, -v3
	v_fma_f16 v16, v5, 2.0, -v4
	v_fma_f16 v12, v12, 2.0, -v9
	v_pk_fma_f16 v5, v0, 2.0, v7 op_sel_hi:[1,0,1] neg_lo:[0,0,1] neg_hi:[0,0,1]
	v_pack_b32_f16 v8, v18, v3
	v_pack_b32_f16 v6, v6, v13
	v_pk_fma_f16 v0, v1, 2.0, v2 op_sel_hi:[1,0,1] neg_lo:[0,0,1] neg_hi:[0,0,1]
	v_pack_b32_f16 v3, v4, v9
	v_pack_b32_f16 v1, v16, v12
	ds_write_b128 v26, v[5:8]
	ds_write_b128 v28, v[0:3]
	s_waitcnt lgkmcnt(0)
	s_barrier
	buffer_gl0_inv
	ds_read2_b32 v[0:1], v41 offset1:144
	ds_read2_b32 v[5:6], v11 offset1:144
	;; [unrolled: 1-line block ×3, first 2 shown]
                                        ; kill: def $vgpr3 killed $sgpr0 killed $exec
                                        ; implicit-def: $vgpr11
	s_and_saveexec_b32 s0, vcc_lo
	s_cbranch_execz .LBB0_3
; %bb.2:
	v_add_nc_u32_e32 v2, 0x80, v41
	ds_read_b32 v10, v41 offset:4224
	ds_read2st64_b32 v[3:4], v2 offset0:4 offset1:10
	s_waitcnt lgkmcnt(1)
	v_lshrrev_b32_e32 v11, 16, v10
	s_waitcnt lgkmcnt(0)
	v_lshrrev_b32_e32 v9, 16, v4
	v_mov_b32_e32 v2, v3
.LBB0_3:
	s_or_b32 exec_lo, exec_lo, s0
	v_and_b32_e32 v42, 3, v38
	v_lshrrev_b32_e32 v12, 2, v15
	s_waitcnt lgkmcnt(1)
	v_lshrrev_b32_e32 v20, 16, v5
	s_waitcnt lgkmcnt(0)
	v_lshrrev_b32_e32 v21, 16, v7
	v_lshrrev_b32_e32 v23, 16, v6
	v_lshlrev_b32_e32 v3, 3, v42
	v_mul_u32_u24_e32 v12, 12, v12
	v_lshrrev_b32_e32 v24, 16, v8
	v_lshrrev_b32_e32 v14, 16, v0
	;; [unrolled: 1-line block ×3, first 2 shown]
	global_load_dwordx2 v[18:19], v3, s[14:15]
	v_lshrrev_b32_e32 v3, 2, v38
	v_or_b32_e32 v12, v12, v42
	v_add_co_u32 v16, null, 0x120, v38
	s_waitcnt vmcnt(0)
	v_mul_u32_u24_e32 v13, 12, v3
	v_lshlrev_b32_e32 v44, 2, v12
	v_lshrrev_b32_e32 v3, 16, v2
	v_lshrrev_b32_e32 v43, 2, v16
	s_barrier
	v_or_b32_e32 v13, v13, v42
	buffer_gl0_inv
	v_lshlrev_b32_e32 v45, 2, v13
	v_mul_f16_sdwa v25, v20, v18 dst_sel:DWORD dst_unused:UNUSED_PAD src0_sel:DWORD src1_sel:WORD_1
	v_mul_f16_sdwa v27, v5, v18 dst_sel:DWORD dst_unused:UNUSED_PAD src0_sel:DWORD src1_sel:WORD_1
	;; [unrolled: 1-line block ×12, first 2 shown]
	v_fma_f16 v25, v5, v18, -v25
	v_fmac_f16_e32 v27, v20, v18
	v_fma_f16 v7, v7, v19, -v29
	v_fmac_f16_e32 v30, v21, v19
	;; [unrolled: 2-line block ×6, first 2 shown]
	v_add_f16_e32 v10, v25, v7
	v_sub_f16_e32 v11, v27, v30
	v_add_f16_e32 v21, v14, v27
	v_add_f16_e32 v23, v27, v30
	v_add_f16_e32 v27, v6, v20
	v_sub_f16_e32 v29, v46, v48
	v_add_f16_e32 v31, v22, v46
	v_add_f16_e32 v46, v46, v48
	;; [unrolled: 1-line block ×3, first 2 shown]
	v_sub_f16_e32 v24, v25, v7
	v_add_f16_e32 v25, v1, v6
	v_sub_f16_e32 v47, v6, v20
	v_add_f16_e32 v49, v5, v4
	v_add_f16_e32 v50, v13, v12
	v_fma_f16 v10, -0.5, v10, v0
	v_fmac_f16_e32 v14, -0.5, v23
	v_fmac_f16_e32 v1, -0.5, v27
	;; [unrolled: 1-line block ×3, first 2 shown]
	v_sub_f16_e32 v6, v13, v12
	v_sub_f16_e32 v8, v5, v4
	v_add_f16_e32 v9, v9, v7
	v_add_f16_e32 v21, v21, v30
	;; [unrolled: 1-line block ×3, first 2 shown]
	v_fma_f16 v0, -0.5, v49, v2
	v_fma_f16 v7, -0.5, v50, v3
	v_fmamk_f16 v25, v11, 0x3aee, v10
	v_fmac_f16_e32 v10, 0xbaee, v11
	v_fmamk_f16 v11, v24, 0xbaee, v14
	v_fmac_f16_e32 v14, 0x3aee, v24
	;; [unrolled: 2-line block ×3, first 2 shown]
	v_fmamk_f16 v29, v47, 0xbaee, v22
	v_add_f16_e32 v23, v31, v48
	v_fmac_f16_e32 v22, 0x3aee, v47
	v_fmamk_f16 v27, v6, 0xbaee, v0
	v_pack_b32_f16 v9, v9, v21
	v_pack_b32_f16 v11, v25, v11
	;; [unrolled: 1-line block ×4, first 2 shown]
	v_fmamk_f16 v29, v8, 0x3aee, v7
	v_pack_b32_f16 v20, v20, v23
	v_pack_b32_f16 v1, v1, v22
	ds_write2_b32 v45, v9, v11 offset1:4
	ds_write_b32 v45, v10 offset:32
	ds_write2_b32 v44, v20, v14 offset1:4
	ds_write_b32 v44, v1 offset:32
	s_and_saveexec_b32 s0, vcc_lo
	s_cbranch_execz .LBB0_5
; %bb.4:
	v_mul_f16_e32 v1, 0x3aee, v8
	v_add_f16_e32 v3, v3, v13
	v_mul_u32_u24_e32 v8, 12, v43
	v_add_f16_e32 v2, v2, v5
	v_mul_f16_e32 v5, 0x3aee, v6
	v_sub_f16_e32 v1, v7, v1
	v_add_f16_e32 v3, v3, v12
	v_or_b32_e32 v6, v8, v42
	v_add_f16_e32 v2, v2, v4
	v_add_f16_e32 v0, v5, v0
	v_lshlrev_b32_e32 v4, 2, v6
	v_pack_b32_f16 v2, v2, v3
	v_pack_b32_f16 v0, v0, v1
	v_perm_b32 v1, v29, v27, 0x5040100
	ds_write2_b32 v4, v2, v0 offset1:4
	ds_write_b32 v4, v1 offset:32
.LBB0_5:
	s_or_b32 exec_lo, exec_lo, s0
	v_and_b32_e32 v0, 0xff, v38
	s_waitcnt lgkmcnt(0)
	s_barrier
	buffer_gl0_inv
	v_add_nc_u32_e32 v6, 0x400, v41
	v_mul_lo_u16 v0, 0xab, v0
	v_add_nc_u32_e32 v11, 0x800, v41
	v_add_nc_u32_e32 v22, 0xc00, v41
	v_mov_b32_e32 v23, 0x60
	v_add_nc_u32_e32 v24, 0x600, v41
	v_lshrrev_b16 v20, 11, v0
	v_mul_lo_u16 v0, v20, 12
	v_mul_u32_u24_sdwa v20, v20, v23 dst_sel:DWORD dst_unused:UNUSED_PAD src0_sel:WORD_0 src1_sel:DWORD
	v_sub_nc_u16 v0, v38, v0
	v_and_b32_e32 v21, 0xff, v0
	v_mad_u64_u32 v[4:5], null, v21, 28, s[14:15]
	v_or_b32_e32 v20, v20, v21
	s_clause 0x1
	global_load_dwordx4 v[0:3], v[4:5], off offset:32
	global_load_dwordx3 v[8:10], v[4:5], off offset:48
	ds_read2_b32 v[4:5], v41 offset1:144
	ds_read2_b32 v[6:7], v6 offset0:32 offset1:176
	ds_read2_b32 v[11:12], v11 offset0:64 offset1:208
	;; [unrolled: 1-line block ×3, first 2 shown]
	v_lshlrev_b32_e32 v46, 2, v20
	s_waitcnt vmcnt(0) lgkmcnt(0)
	s_barrier
	buffer_gl0_inv
	v_lshrrev_b32_e32 v30, 16, v6
	v_lshrrev_b32_e32 v25, 16, v5
	;; [unrolled: 1-line block ×8, first 2 shown]
	v_mul_f16_sdwa v20, v25, v0 dst_sel:DWORD dst_unused:UNUSED_PAD src0_sel:DWORD src1_sel:WORD_1
	v_mul_f16_sdwa v50, v5, v0 dst_sel:DWORD dst_unused:UNUSED_PAD src0_sel:DWORD src1_sel:WORD_1
	;; [unrolled: 1-line block ×14, first 2 shown]
	v_fma_f16 v5, v5, v0, -v20
	v_fmac_f16_e32 v50, v25, v0
	v_fma_f16 v6, v6, v1, -v51
	v_fmac_f16_e32 v52, v30, v1
	;; [unrolled: 2-line block ×7, first 2 shown]
	v_sub_f16_e32 v11, v4, v11
	v_sub_f16_e32 v20, v23, v56
	;; [unrolled: 1-line block ×8, first 2 shown]
	v_fma_f16 v4, v4, 2.0, -v11
	v_fma_f16 v23, v23, 2.0, -v20
	;; [unrolled: 1-line block ×8, first 2 shown]
	v_sub_f16_e32 v21, v11, v21
	v_add_f16_e32 v13, v20, v13
	v_sub_f16_e32 v49, v12, v30
	v_add_f16_e32 v14, v25, v14
	v_sub_f16_e32 v6, v4, v6
	v_sub_f16_e32 v50, v23, v31
	v_fma_f16 v11, v11, 2.0, -v21
	v_fma_f16 v20, v20, 2.0, -v13
	v_sub_f16_e32 v30, v47, v5
	v_sub_f16_e32 v7, v48, v7
	v_fma_f16 v12, v12, 2.0, -v49
	v_fma_f16 v25, v25, 2.0, -v14
	v_fmamk_f16 v5, v49, 0x39a8, v21
	v_fmamk_f16 v31, v14, 0x39a8, v13
	v_fma_f16 v51, v4, 2.0, -v6
	v_fma_f16 v23, v23, 2.0, -v50
	v_fma_f16 v47, v47, 2.0, -v30
	v_fma_f16 v48, v48, 2.0, -v7
	v_fmamk_f16 v52, v12, 0xb9a8, v11
	v_fmamk_f16 v53, v25, 0xb9a8, v20
	v_sub_f16_e32 v4, v6, v7
	v_add_f16_e32 v30, v50, v30
	v_fmac_f16_e32 v5, 0xb9a8, v14
	v_fmac_f16_e32 v31, 0x39a8, v49
	v_sub_f16_e32 v7, v51, v47
	v_sub_f16_e32 v14, v23, v48
	v_fmac_f16_e32 v52, 0xb9a8, v25
	v_fmac_f16_e32 v53, 0x39a8, v12
	v_fma_f16 v6, v6, 2.0, -v4
	v_fma_f16 v12, v50, 2.0, -v30
	;; [unrolled: 1-line block ×8, first 2 shown]
	v_pack_b32_f16 v25, v4, v30
	v_pack_b32_f16 v47, v5, v31
	;; [unrolled: 1-line block ×8, first 2 shown]
	ds_write2_b32 v46, v25, v47 offset0:72 offset1:84
	ds_write2_b32 v46, v6, v12 offset0:24 offset1:36
	;; [unrolled: 1-line block ×3, first 2 shown]
	ds_write2_b32 v46, v14, v11 offset1:12
	s_waitcnt lgkmcnt(0)
	s_barrier
	buffer_gl0_inv
	ds_read2_b32 v[6:7], v41 offset1:144
	ds_read2_b32 v[11:12], v24 offset1:144
	;; [unrolled: 1-line block ×3, first 2 shown]
	s_and_saveexec_b32 s0, vcc_lo
	s_cbranch_execz .LBB0_7
; %bb.6:
	v_add_nc_u32_e32 v4, 0x80, v41
	ds_read2st64_b32 v[4:5], v4 offset0:4 offset1:10
	ds_read_b32 v27, v41 offset:4224
	s_waitcnt lgkmcnt(1)
	v_lshrrev_b32_e32 v30, 16, v4
	v_lshrrev_b32_e32 v31, 16, v5
	s_waitcnt lgkmcnt(0)
	v_lshrrev_b32_e32 v29, 16, v27
.LBB0_7:
	s_or_b32 exec_lo, exec_lo, s0
	v_add_co_u32 v20, s0, 0xffffffa0, v38
	v_add_co_ci_u32_e64 v21, null, 0, -1, s0
	v_mov_b32_e32 v22, 0xaaab
	v_cndmask_b32_e32 v48, v20, v38, vcc_lo
	s_waitcnt lgkmcnt(1)
	v_lshrrev_b32_e32 v51, 16, v11
	v_cndmask_b32_e64 v49, v21, 0, vcc_lo
	s_waitcnt lgkmcnt(0)
	v_lshrrev_b32_e32 v52, 16, v13
	v_mul_u32_u24_sdwa v21, v15, v22 dst_sel:DWORD dst_unused:UNUSED_PAD src0_sel:WORD_0 src1_sel:DWORD
	v_mul_u32_u24_sdwa v22, v16, v22 dst_sel:DWORD dst_unused:UNUSED_PAD src0_sel:WORD_0 src1_sel:DWORD
	v_lshrrev_b32_e32 v55, 16, v12
	v_lshrrev_b32_e32 v56, 16, v14
	;; [unrolled: 1-line block ×5, first 2 shown]
	v_lshlrev_b64 v[20:21], 3, v[48:49]
	v_mul_lo_u16 v23, 0x60, v50
	v_mul_lo_u16 v22, 0x60, v22
	v_add_co_u32 v20, s0, s14, v20
	v_sub_nc_u16 v49, v15, v23
	v_add_co_ci_u32_e64 v21, s0, s15, v21, s0
	v_sub_nc_u16 v47, v16, v22
	v_lshlrev_b16 v15, 3, v49
	global_load_dwordx2 v[24:25], v[20:21], off offset:368
	v_mad_u16 v50, 0x120, v50, v49
	v_lshlrev_b16 v16, 3, v47
	v_and_b32_e32 v15, 0xffff, v15
	v_and_b32_e32 v20, 0xffff, v16
	v_add_co_u32 v15, s0, s14, v15
	v_add_co_ci_u32_e64 v16, null, s15, 0, s0
	v_add_co_u32 v20, s0, s14, v20
	v_add_co_ci_u32_e64 v21, null, s15, 0, s0
	s_clause 0x1
	global_load_dwordx2 v[22:23], v[15:16], off offset:368
	global_load_dwordx2 v[20:21], v[20:21], off offset:368
	v_cmp_lt_u16_e64 s0, 0x5f, v38
	v_mov_b32_e32 v15, 2
	v_lshrrev_b32_e32 v16, 16, v6
	s_waitcnt vmcnt(0)
	s_barrier
	v_cndmask_b32_e64 v53, 0, 0x120, s0
	buffer_gl0_inv
	v_add_lshl_u32 v49, v48, v53, 2
	v_lshlrev_b32_sdwa v48, v15, v50 dst_sel:DWORD dst_unused:UNUSED_PAD src0_sel:DWORD src1_sel:WORD_0
	v_mul_f16_sdwa v50, v51, v24 dst_sel:DWORD dst_unused:UNUSED_PAD src0_sel:DWORD src1_sel:WORD_1
	v_mul_f16_sdwa v53, v11, v24 dst_sel:DWORD dst_unused:UNUSED_PAD src0_sel:DWORD src1_sel:WORD_1
	;; [unrolled: 1-line block ×4, first 2 shown]
	v_fma_f16 v11, v11, v24, -v50
	v_fmac_f16_e32 v53, v51, v24
	v_fma_f16 v13, v13, v25, -v57
	v_fmac_f16_e32 v58, v52, v25
	v_add_f16_e32 v50, v6, v11
	v_add_f16_e32 v57, v16, v53
	;; [unrolled: 1-line block ×3, first 2 shown]
	v_sub_f16_e32 v52, v53, v58
	v_add_f16_e32 v53, v53, v58
	v_sub_f16_e32 v59, v11, v13
	v_add_f16_e32 v13, v50, v13
	v_fma_f16 v50, -0.5, v51, v6
	v_add_f16_e32 v51, v57, v58
	v_fmac_f16_e32 v16, -0.5, v53
	v_mul_f16_sdwa v53, v55, v22 dst_sel:DWORD dst_unused:UNUSED_PAD src0_sel:DWORD src1_sel:WORD_1
	v_mul_f16_sdwa v57, v12, v22 dst_sel:DWORD dst_unused:UNUSED_PAD src0_sel:DWORD src1_sel:WORD_1
	;; [unrolled: 1-line block ×8, first 2 shown]
	v_fmamk_f16 v63, v52, 0x3aee, v50
	v_fmac_f16_e32 v50, 0xbaee, v52
	v_fmamk_f16 v52, v59, 0xbaee, v16
	v_fmac_f16_e32 v16, 0x3aee, v59
	v_pack_b32_f16 v59, v13, v51
	v_fma_f16 v13, v12, v22, -v53
	v_fmac_f16_e32 v57, v55, v22
	v_fma_f16 v14, v14, v23, -v58
	v_fmac_f16_e32 v60, v56, v23
	;; [unrolled: 2-line block ×4, first 2 shown]
	v_pack_b32_f16 v31, v50, v16
	v_add_f16_e32 v50, v13, v14
	v_add_f16_e32 v53, v57, v60
	v_pack_b32_f16 v29, v63, v52
	v_add_f16_e32 v27, v7, v13
	v_sub_f16_e32 v51, v57, v60
	v_add_f16_e32 v52, v54, v57
	v_sub_f16_e32 v55, v13, v14
	v_add_f16_e32 v56, v12, v5
	v_add_f16_e32 v57, v11, v6
	v_fmac_f16_e32 v7, -0.5, v50
	v_fmac_f16_e32 v54, -0.5, v53
	v_sub_f16_e32 v13, v11, v6
	v_sub_f16_e32 v16, v12, v5
	v_add_f16_e32 v58, v27, v14
	v_fma_f16 v14, -0.5, v56, v4
	v_fmamk_f16 v53, v51, 0x3aee, v7
	v_fmac_f16_e32 v7, 0xbaee, v51
	v_fmamk_f16 v51, v55, 0xbaee, v54
	v_fma_f16 v27, -0.5, v57, v30
	v_add_f16_e32 v52, v52, v60
	v_fmac_f16_e32 v54, 0x3aee, v55
	v_fmamk_f16 v50, v13, 0xbaee, v14
	v_pack_b32_f16 v53, v53, v51
	v_fmamk_f16 v51, v16, 0x3aee, v27
	v_pack_b32_f16 v52, v58, v52
	v_pack_b32_f16 v7, v7, v54
	ds_write2_b32 v49, v59, v29 offset1:96
	ds_write_b32 v49, v31 offset:768
	ds_write2_b32 v48, v52, v53 offset1:96
	ds_write_b32 v48, v7 offset:768
	s_and_saveexec_b32 s0, vcc_lo
	s_cbranch_execz .LBB0_9
; %bb.8:
	v_mul_f16_e32 v7, 0x3aee, v16
	v_add_f16_e32 v11, v30, v11
	v_add_f16_e32 v4, v4, v12
	v_mul_f16_e32 v12, 0x3aee, v13
	v_sub_f16_e32 v7, v27, v7
	v_add_f16_e32 v6, v11, v6
	v_add_f16_e32 v4, v4, v5
	;; [unrolled: 1-line block ×3, first 2 shown]
	v_lshlrev_b32_sdwa v11, v15, v47 dst_sel:DWORD dst_unused:UNUSED_PAD src0_sel:DWORD src1_sel:WORD_0
	v_pack_b32_f16 v4, v4, v6
	v_pack_b32_f16 v5, v5, v7
	v_add_nc_u32_e32 v6, 0xc00, v11
	v_perm_b32 v7, v51, v50, 0x5040100
	ds_write2_b32 v6, v4, v5 offset0:96 offset1:192
	ds_write_b32 v11, v7 offset:4224
.LBB0_9:
	s_or_b32 exec_lo, exec_lo, s0
	v_mad_u64_u32 v[4:5], null, v38, 12, s[14:15]
	s_waitcnt lgkmcnt(0)
	s_barrier
	buffer_gl0_inv
	v_add_nc_u32_e32 v27, 0x400, v41
	v_add_nc_u32_e32 v31, 0x800, v41
	;; [unrolled: 1-line block ×3, first 2 shown]
	global_load_dwordx3 v[11:13], v[4:5], off offset:1136
	v_add_co_u32 v4, s0, 0x800, v4
	v_add_co_ci_u32_e64 v5, s0, 0, v5, s0
	v_lshlrev_b32_e32 v54, 2, v38
	global_load_dwordx3 v[14:16], v[4:5], off offset:816
	ds_read2_b32 v[4:5], v41 offset1:144
	ds_read2_b32 v[6:7], v27 offset0:32 offset1:176
	ds_read2_b32 v[29:30], v31 offset0:64 offset1:208
	;; [unrolled: 1-line block ×3, first 2 shown]
	v_add_co_u32 v56, s0, s12, v54
	v_add_co_ci_u32_e64 v58, null, s13, 0, s0
	v_add_co_u32 v54, s0, 0x1000, v56
	v_add_co_ci_u32_e64 v55, s0, 0, v58, s0
	s_waitcnt lgkmcnt(3)
	v_lshrrev_b32_e32 v59, 16, v4
	s_waitcnt lgkmcnt(2)
	v_lshrrev_b32_e32 v61, 16, v6
	;; [unrolled: 2-line block ×4, first 2 shown]
	v_lshrrev_b32_e32 v64, 16, v7
	v_lshrrev_b32_e32 v65, 16, v30
	;; [unrolled: 1-line block ×4, first 2 shown]
	s_waitcnt vmcnt(1)
	v_mul_f16_sdwa v67, v61, v11 dst_sel:DWORD dst_unused:UNUSED_PAD src0_sel:DWORD src1_sel:WORD_1
	v_mul_f16_sdwa v68, v6, v11 dst_sel:DWORD dst_unused:UNUSED_PAD src0_sel:DWORD src1_sel:WORD_1
	;; [unrolled: 1-line block ×6, first 2 shown]
	v_fma_f16 v6, v6, v11, -v67
	v_fmac_f16_e32 v68, v61, v11
	v_fma_f16 v29, v29, v12, -v69
	v_fmac_f16_e32 v70, v62, v12
	;; [unrolled: 2-line block ×3, first 2 shown]
	s_waitcnt vmcnt(0)
	v_mul_f16_sdwa v61, v64, v14 dst_sel:DWORD dst_unused:UNUSED_PAD src0_sel:DWORD src1_sel:WORD_1
	v_mul_f16_sdwa v62, v7, v14 dst_sel:DWORD dst_unused:UNUSED_PAD src0_sel:DWORD src1_sel:WORD_1
	;; [unrolled: 1-line block ×6, first 2 shown]
	v_fma_f16 v7, v7, v14, -v61
	v_fmac_f16_e32 v62, v64, v14
	v_fma_f16 v30, v30, v15, -v63
	v_fmac_f16_e32 v67, v65, v15
	;; [unrolled: 2-line block ×3, first 2 shown]
	v_sub_f16_e32 v29, v4, v29
	v_sub_f16_e32 v61, v59, v70
	;; [unrolled: 1-line block ×8, first 2 shown]
	v_fma_f16 v4, v4, 2.0, -v29
	v_fma_f16 v59, v59, 2.0, -v61
	v_fma_f16 v6, v6, 2.0, -v52
	v_fma_f16 v64, v68, 2.0, -v63
	v_fma_f16 v5, v5, 2.0, -v30
	v_fma_f16 v60, v60, 2.0, -v65
	v_fma_f16 v7, v7, 2.0, -v53
	v_fma_f16 v62, v62, 2.0, -v66
	v_sub_f16_e32 v63, v29, v63
	v_add_f16_e32 v52, v61, v52
	v_sub_f16_e32 v6, v4, v6
	v_sub_f16_e32 v64, v59, v64
	;; [unrolled: 1-line block ×5, first 2 shown]
	v_add_f16_e32 v53, v65, v53
	v_fma_f16 v29, v29, 2.0, -v63
	v_fma_f16 v61, v61, 2.0, -v52
	;; [unrolled: 1-line block ×6, first 2 shown]
	v_pack_b32_f16 v52, v63, v52
	v_fma_f16 v30, v30, 2.0, -v66
	v_fma_f16 v63, v65, 2.0, -v53
	v_pack_b32_f16 v29, v29, v61
	v_pack_b32_f16 v6, v6, v64
	;; [unrolled: 1-line block ×5, first 2 shown]
	ds_write_b32 v41, v52 offset:3456
	v_pack_b32_f16 v52, v66, v53
	v_pack_b32_f16 v7, v7, v62
	ds_write_b32 v41, v29 offset:1152
	ds_write_b32 v41, v6 offset:2304
	ds_write2_b32 v41, v4, v5 offset1:144
	ds_write_b32 v41, v30 offset:1728
	ds_write_b32 v41, v7 offset:2880
	;; [unrolled: 1-line block ×3, first 2 shown]
	s_waitcnt lgkmcnt(0)
	s_barrier
	buffer_gl0_inv
	global_load_dword v52, v[54:55], off offset:512
	v_add_co_u32 v4, s0, 0x1800, v56
	v_add_co_ci_u32_e64 v5, s0, 0, v58, s0
	v_add_co_u32 v6, s0, 0x2000, v56
	v_add_co_ci_u32_e64 v7, s0, 0, v58, s0
	;; [unrolled: 2-line block ×3, first 2 shown]
	s_clause 0x6
	global_load_dword v54, v[4:5], off offset:768
	global_load_dword v55, v[6:7], off offset:448
	;; [unrolled: 1-line block ×7, first 2 shown]
	ds_read2_b32 v[4:5], v41 offset1:144
	s_waitcnt lgkmcnt(0)
	v_lshrrev_b32_e32 v6, 16, v4
	s_waitcnt vmcnt(7)
	v_mul_f16_sdwa v7, v6, v52 dst_sel:DWORD dst_unused:UNUSED_PAD src0_sel:DWORD src1_sel:WORD_1
	v_mul_f16_sdwa v29, v4, v52 dst_sel:DWORD dst_unused:UNUSED_PAD src0_sel:DWORD src1_sel:WORD_1
	v_fma_f16 v4, v4, v52, -v7
	v_fmac_f16_e32 v29, v6, v52
	v_pack_b32_f16 v4, v4, v29
	s_waitcnt vmcnt(2)
	v_mul_f16_sdwa v63, v5, v59 dst_sel:DWORD dst_unused:UNUSED_PAD src0_sel:DWORD src1_sel:WORD_1
	ds_write_b32 v41, v4
	ds_read2_b32 v[6:7], v27 offset0:32 offset1:176
	ds_read2_b32 v[29:30], v31 offset0:64 offset1:208
	;; [unrolled: 1-line block ×3, first 2 shown]
	v_lshrrev_b32_e32 v4, 16, v5
	v_mul_f16_sdwa v62, v4, v59 dst_sel:DWORD dst_unused:UNUSED_PAD src0_sel:DWORD src1_sel:WORD_1
	v_fmac_f16_e32 v63, v4, v59
	v_add_nc_u32_e32 v4, 0x200, v41
	v_fma_f16 v5, v5, v59, -v62
	v_add_nc_u32_e32 v59, 0x600, v41
	v_add_nc_u32_e32 v62, 0xa00, v41
	v_pack_b32_f16 v5, v5, v63
	s_waitcnt lgkmcnt(2)
	v_lshrrev_b32_e32 v63, 16, v6
	s_waitcnt vmcnt(1)
	v_mul_f16_sdwa v64, v6, v60 dst_sel:DWORD dst_unused:UNUSED_PAD src0_sel:DWORD src1_sel:WORD_1
	s_waitcnt lgkmcnt(1)
	v_lshrrev_b32_e32 v65, 16, v29
	v_mul_f16_sdwa v66, v29, v54 dst_sel:DWORD dst_unused:UNUSED_PAD src0_sel:DWORD src1_sel:WORD_1
	s_waitcnt lgkmcnt(0)
	v_lshrrev_b32_e32 v67, 16, v52
	s_waitcnt vmcnt(0)
	v_mul_f16_sdwa v68, v52, v61 dst_sel:DWORD dst_unused:UNUSED_PAD src0_sel:DWORD src1_sel:WORD_1
	v_lshrrev_b32_e32 v69, 16, v7
	v_mul_f16_sdwa v70, v7, v58 dst_sel:DWORD dst_unused:UNUSED_PAD src0_sel:DWORD src1_sel:WORD_1
	v_lshrrev_b32_e32 v71, 16, v30
	;; [unrolled: 2-line block ×3, first 2 shown]
	v_mul_f16_sdwa v75, v63, v60 dst_sel:DWORD dst_unused:UNUSED_PAD src0_sel:DWORD src1_sel:WORD_1
	v_fmac_f16_e32 v64, v63, v60
	v_mul_f16_sdwa v63, v65, v54 dst_sel:DWORD dst_unused:UNUSED_PAD src0_sel:DWORD src1_sel:WORD_1
	v_fmac_f16_e32 v66, v65, v54
	;; [unrolled: 2-line block ×4, first 2 shown]
	v_mul_f16_sdwa v69, v71, v56 dst_sel:DWORD dst_unused:UNUSED_PAD src0_sel:DWORD src1_sel:WORD_1
	v_mul_f16_sdwa v74, v53, v55 dst_sel:DWORD dst_unused:UNUSED_PAD src0_sel:DWORD src1_sel:WORD_1
	v_fmac_f16_e32 v72, v71, v56
	v_mul_f16_sdwa v71, v73, v55 dst_sel:DWORD dst_unused:UNUSED_PAD src0_sel:DWORD src1_sel:WORD_1
	v_fma_f16 v6, v6, v60, -v75
	v_fma_f16 v29, v29, v54, -v63
	;; [unrolled: 1-line block ×5, first 2 shown]
	v_fmac_f16_e32 v74, v73, v55
	v_fma_f16 v53, v53, v55, -v71
	v_pack_b32_f16 v6, v6, v64
	v_pack_b32_f16 v29, v29, v66
	;; [unrolled: 1-line block ×6, first 2 shown]
	ds_write2_b32 v4, v5, v6 offset0:16 offset1:160
	ds_write2_b32 v59, v7, v29 offset0:48 offset1:192
	;; [unrolled: 1-line block ×3, first 2 shown]
	ds_write_b32 v41, v53 offset:4032
	s_waitcnt lgkmcnt(0)
	s_barrier
	buffer_gl0_inv
	ds_read2_b32 v[4:5], v41 offset1:144
	ds_read2_b32 v[6:7], v27 offset0:32 offset1:176
	ds_read2_b32 v[29:30], v31 offset0:64 offset1:208
	;; [unrolled: 1-line block ×3, first 2 shown]
	s_waitcnt lgkmcnt(0)
	s_barrier
	buffer_gl0_inv
	v_pk_add_f16 v30, v5, v30 neg_lo:[0,1] neg_hi:[0,1]
	v_pk_add_f16 v31, v7, v53 neg_lo:[0,1] neg_hi:[0,1]
	;; [unrolled: 1-line block ×4, first 2 shown]
	v_pk_fma_f16 v5, v5, 2.0, v30 op_sel_hi:[1,0,1] neg_lo:[0,0,1] neg_hi:[0,0,1]
	v_pk_fma_f16 v7, v7, 2.0, v31 op_sel_hi:[1,0,1] neg_lo:[0,0,1] neg_hi:[0,0,1]
	v_lshrrev_b32_e32 v54, 16, v30
	v_lshrrev_b32_e32 v56, 16, v29
	v_pk_fma_f16 v4, v4, 2.0, v29 op_sel_hi:[1,0,1] neg_lo:[0,0,1] neg_hi:[0,0,1]
	v_pk_fma_f16 v55, v6, 2.0, v53 op_sel_hi:[1,0,1] neg_lo:[0,0,1] neg_hi:[0,0,1]
	v_add_f16_sdwa v58, v29, v53 dst_sel:DWORD dst_unused:UNUSED_PAD src0_sel:DWORD src1_sel:WORD_1
	v_pk_add_f16 v6, v5, v7 neg_lo:[0,1] neg_hi:[0,1]
	v_sub_f16_e32 v52, v54, v31
	v_sub_f16_e32 v7, v56, v53
	v_add_f16_sdwa v27, v30, v31 dst_sel:DWORD dst_unused:UNUSED_PAD src0_sel:DWORD src1_sel:WORD_1
	v_pk_add_f16 v55, v4, v55 neg_lo:[0,1] neg_hi:[0,1]
	v_fma_f16 v29, v29, 2.0, -v58
	v_fma_f16 v31, v54, 2.0, -v52
	;; [unrolled: 1-line block ×4, first 2 shown]
	v_pk_fma_f16 v53, v4, 2.0, v55 op_sel_hi:[1,0,1] neg_lo:[0,0,1] neg_hi:[0,0,1]
	v_pack_b32_f16 v56, v58, v7
	v_pk_fma_f16 v4, v5, 2.0, v6 op_sel_hi:[1,0,1] neg_lo:[0,0,1] neg_hi:[0,0,1]
	v_pack_b32_f16 v54, v29, v54
	v_pack_b32_f16 v7, v27, v52
	;; [unrolled: 1-line block ×3, first 2 shown]
	ds_write_b128 v26, v[53:56]
	ds_write_b128 v28, v[4:7]
	s_waitcnt lgkmcnt(0)
	s_barrier
	buffer_gl0_inv
	ds_read2_b32 v[4:5], v41 offset1:144
	ds_read2_b32 v[30:31], v59 offset1:144
	;; [unrolled: 1-line block ×3, first 2 shown]
	s_and_saveexec_b32 s0, vcc_lo
	s_cbranch_execz .LBB0_11
; %bb.10:
	v_add_nc_u32_e32 v6, 0x80, v41
	ds_read_b32 v50, v41 offset:4224
	ds_read2st64_b32 v[26:27], v6 offset0:4 offset1:10
	s_waitcnt lgkmcnt(1)
	v_lshrrev_b32_e32 v51, 16, v50
	s_waitcnt lgkmcnt(0)
	v_lshrrev_b32_e32 v52, 16, v27
	v_mov_b32_e32 v6, v26
.LBB0_11:
	s_or_b32 exec_lo, exec_lo, s0
	s_waitcnt lgkmcnt(0)
	v_lshrrev_b32_e32 v26, 16, v28
	v_lshrrev_b32_e32 v7, 16, v30
	v_mul_f16_sdwa v60, v19, v28 dst_sel:DWORD dst_unused:UNUSED_PAD src0_sel:WORD_1 src1_sel:DWORD
	v_lshrrev_b32_e32 v55, 16, v31
	v_lshrrev_b32_e32 v57, 16, v29
	v_mul_f16_sdwa v59, v19, v26 dst_sel:DWORD dst_unused:UNUSED_PAD src0_sel:WORD_1 src1_sel:DWORD
	v_mul_f16_sdwa v56, v18, v7 dst_sel:DWORD dst_unused:UNUSED_PAD src0_sel:WORD_1 src1_sel:DWORD
	;; [unrolled: 1-line block ×3, first 2 shown]
	v_lshrrev_b32_e32 v53, 16, v4
	v_lshrrev_b32_e32 v54, 16, v5
	v_fmac_f16_e32 v59, v19, v28
	v_fma_f16 v28, v19, v26, -v60
	v_mul_f16_sdwa v26, v18, v31 dst_sel:DWORD dst_unused:UNUSED_PAD src0_sel:WORD_1 src1_sel:DWORD
	v_fmac_f16_e32 v56, v18, v30
	v_mul_f16_sdwa v30, v18, v55 dst_sel:DWORD dst_unused:UNUSED_PAD src0_sel:WORD_1 src1_sel:DWORD
	v_fma_f16 v58, v18, v7, -v58
	v_mul_f16_sdwa v60, v19, v57 dst_sel:DWORD dst_unused:UNUSED_PAD src0_sel:WORD_1 src1_sel:DWORD
	v_mul_f16_sdwa v7, v18, v52 dst_sel:DWORD dst_unused:UNUSED_PAD src0_sel:WORD_1 src1_sel:DWORD
	v_fma_f16 v55, v18, v55, -v26
	v_mul_f16_sdwa v26, v18, v27 dst_sel:DWORD dst_unused:UNUSED_PAD src0_sel:WORD_1 src1_sel:DWORD
	v_fmac_f16_e32 v30, v18, v31
	v_mul_f16_sdwa v31, v19, v29 dst_sel:DWORD dst_unused:UNUSED_PAD src0_sel:WORD_1 src1_sel:DWORD
	v_fmac_f16_e32 v60, v19, v29
	v_fmac_f16_e32 v7, v18, v27
	v_add_f16_e32 v29, v56, v59
	v_fma_f16 v27, v18, v52, -v26
	v_mul_f16_sdwa v18, v19, v50 dst_sel:DWORD dst_unused:UNUSED_PAD src0_sel:WORD_1 src1_sel:DWORD
	v_fma_f16 v57, v19, v57, -v31
	v_mul_f16_sdwa v26, v19, v51 dst_sel:DWORD dst_unused:UNUSED_PAD src0_sel:WORD_1 src1_sel:DWORD
	v_add_f16_e32 v31, v4, v56
	v_fma_f16 v52, -0.5, v29, v4
	v_sub_f16_e32 v29, v58, v28
	v_fma_f16 v4, v19, v51, -v18
	v_add_f16_e32 v18, v58, v28
	v_fmac_f16_e32 v26, v19, v50
	v_add_f16_e32 v19, v30, v60
	v_fmamk_f16 v61, v29, 0xbaee, v52
	v_fmac_f16_e32 v52, 0x3aee, v29
	v_add_f16_e32 v29, v53, v58
	v_fmac_f16_e32 v53, -0.5, v18
	v_sub_f16_e32 v18, v56, v59
	v_add_f16_e32 v51, v31, v59
	v_add_f16_e32 v31, v5, v30
	v_fmac_f16_e32 v5, -0.5, v19
	v_sub_f16_e32 v19, v55, v57
	v_fmamk_f16 v58, v18, 0x3aee, v53
	v_fmac_f16_e32 v53, 0xbaee, v18
	v_add_f16_e32 v18, v55, v57
	v_add_f16_e32 v56, v29, v28
	;; [unrolled: 1-line block ×5, first 2 shown]
	v_lshrrev_b32_e32 v31, 16, v6
	v_fmamk_f16 v62, v19, 0xbaee, v5
	v_fmac_f16_e32 v5, 0x3aee, v19
	v_add_f16_e32 v19, v54, v55
	v_fmac_f16_e32 v54, -0.5, v18
	v_sub_f16_e32 v18, v30, v60
	v_fma_f16 v28, -0.5, v28, v6
	v_sub_f16_e32 v30, v27, v4
	v_fma_f16 v29, -0.5, v29, v31
	v_sub_f16_e32 v50, v7, v26
	v_add_f16_e32 v55, v19, v57
	v_fmamk_f16 v57, v18, 0x3aee, v54
	v_fmac_f16_e32 v54, 0xbaee, v18
	v_fmamk_f16 v18, v30, 0x3aee, v28
	v_fmamk_f16 v19, v50, 0xbaee, v29
	v_pack_b32_f16 v51, v51, v56
	v_pack_b32_f16 v56, v61, v58
	;; [unrolled: 1-line block ×6, first 2 shown]
	s_barrier
	buffer_gl0_inv
	ds_write2_b32 v45, v51, v56 offset1:4
	ds_write_b32 v45, v52 offset:32
	ds_write2_b32 v44, v53, v55 offset1:4
	ds_write_b32 v44, v5 offset:32
	s_and_saveexec_b32 s0, vcc_lo
	s_cbranch_execz .LBB0_13
; %bb.12:
	v_mul_f16_e32 v5, 0x3aee, v50
	v_add_f16_e32 v27, v27, v31
	v_mul_u32_u24_e32 v31, 12, v43
	v_add_f16_e32 v6, v6, v7
	v_mul_f16_e32 v7, 0x3aee, v30
	v_add_f16_e32 v5, v5, v29
	v_add_f16_e32 v4, v4, v27
	v_or_b32_e32 v27, v31, v42
	v_add_f16_e32 v6, v26, v6
	v_sub_f16_e32 v7, v28, v7
	v_lshlrev_b32_e32 v26, 2, v27
	v_pack_b32_f16 v4, v6, v4
	v_pack_b32_f16 v5, v7, v5
	v_perm_b32 v6, v19, v18, 0x5040100
	ds_write2_b32 v26, v4, v5 offset1:4
	ds_write_b32 v26, v6 offset:32
.LBB0_13:
	s_or_b32 exec_lo, exec_lo, s0
	s_waitcnt lgkmcnt(0)
	s_barrier
	buffer_gl0_inv
	ds_read2_b32 v[4:5], v41 offset1:144
	v_add_nc_u32_e32 v6, 0x400, v41
	v_add_nc_u32_e32 v26, 0x800, v41
	;; [unrolled: 1-line block ×3, first 2 shown]
	ds_read2_b32 v[6:7], v6 offset0:32 offset1:176
	ds_read2_b32 v[26:27], v26 offset0:64 offset1:208
	;; [unrolled: 1-line block ×3, first 2 shown]
	s_waitcnt lgkmcnt(0)
	s_barrier
	buffer_gl0_inv
	v_lshrrev_b32_e32 v42, 16, v5
	v_mul_f16_sdwa v43, v0, v5 dst_sel:DWORD dst_unused:UNUSED_PAD src0_sel:WORD_1 src1_sel:DWORD
	v_lshrrev_b32_e32 v31, 16, v4
	v_lshrrev_b32_e32 v44, 16, v6
	v_mul_f16_sdwa v54, v0, v42 dst_sel:DWORD dst_unused:UNUSED_PAD src0_sel:WORD_1 src1_sel:DWORD
	v_lshrrev_b32_e32 v45, 16, v7
	v_lshrrev_b32_e32 v50, 16, v26
	;; [unrolled: 1-line block ×3, first 2 shown]
	v_fma_f16 v42, v0, v42, -v43
	v_mul_f16_sdwa v43, v1, v6 dst_sel:DWORD dst_unused:UNUSED_PAD src0_sel:WORD_1 src1_sel:DWORD
	v_mul_f16_sdwa v55, v2, v7 dst_sel:DWORD dst_unused:UNUSED_PAD src0_sel:WORD_1 src1_sel:DWORD
	v_fmac_f16_e32 v54, v0, v5
	v_mul_f16_sdwa v0, v1, v44 dst_sel:DWORD dst_unused:UNUSED_PAD src0_sel:WORD_1 src1_sel:DWORD
	v_lshrrev_b32_e32 v51, 16, v27
	v_lshrrev_b32_e32 v53, 16, v29
	v_mul_f16_sdwa v56, v3, v26 dst_sel:DWORD dst_unused:UNUSED_PAD src0_sel:WORD_1 src1_sel:DWORD
	v_fma_f16 v5, v1, v44, -v43
	v_mul_f16_sdwa v43, v2, v45 dst_sel:DWORD dst_unused:UNUSED_PAD src0_sel:WORD_1 src1_sel:DWORD
	v_fma_f16 v44, v2, v45, -v55
	v_mul_f16_sdwa v45, v3, v50 dst_sel:DWORD dst_unused:UNUSED_PAD src0_sel:WORD_1 src1_sel:DWORD
	v_fmac_f16_e32 v0, v1, v6
	v_mul_f16_sdwa v1, v9, v52 dst_sel:DWORD dst_unused:UNUSED_PAD src0_sel:WORD_1 src1_sel:DWORD
	v_mul_f16_sdwa v57, v8, v27 dst_sel:DWORD dst_unused:UNUSED_PAD src0_sel:WORD_1 src1_sel:DWORD
	;; [unrolled: 1-line block ×3, first 2 shown]
	v_fma_f16 v50, v3, v50, -v56
	v_fmac_f16_e32 v43, v2, v7
	v_fmac_f16_e32 v45, v3, v26
	v_mul_f16_sdwa v3, v9, v28 dst_sel:DWORD dst_unused:UNUSED_PAD src0_sel:WORD_1 src1_sel:DWORD
	v_mul_f16_sdwa v6, v10, v53 dst_sel:DWORD dst_unused:UNUSED_PAD src0_sel:WORD_1 src1_sel:DWORD
	;; [unrolled: 1-line block ×3, first 2 shown]
	v_fmac_f16_e32 v1, v9, v28
	v_fmac_f16_e32 v55, v8, v27
	v_fma_f16 v2, v8, v51, -v57
	v_sub_f16_e32 v8, v4, v45
	v_fma_f16 v3, v9, v52, -v3
	v_fmac_f16_e32 v6, v10, v29
	v_fma_f16 v7, v10, v53, -v7
	v_sub_f16_e32 v1, v0, v1
	v_sub_f16_e32 v9, v31, v50
	v_fma_f16 v4, v4, 2.0, -v8
	v_sub_f16_e32 v3, v5, v3
	v_sub_f16_e32 v10, v54, v55
	;; [unrolled: 1-line block ×3, first 2 shown]
	v_fma_f16 v0, v0, 2.0, -v1
	v_sub_f16_e32 v6, v43, v6
	v_sub_f16_e32 v7, v44, v7
	v_fma_f16 v26, v31, 2.0, -v9
	v_fma_f16 v5, v5, 2.0, -v3
	;; [unrolled: 1-line block ×4, first 2 shown]
	v_sub_f16_e32 v29, v4, v0
	v_fma_f16 v0, v43, 2.0, -v6
	v_add_f16_e32 v3, v8, v3
	v_fma_f16 v31, v44, 2.0, -v7
	v_sub_f16_e32 v42, v9, v1
	v_add_f16_e32 v7, v10, v7
	v_sub_f16_e32 v6, v2, v6
	v_sub_f16_e32 v5, v26, v5
	v_fma_f16 v8, v8, 2.0, -v3
	v_sub_f16_e32 v43, v27, v0
	v_sub_f16_e32 v0, v28, v31
	v_fma_f16 v31, v9, 2.0, -v42
	v_fma_f16 v9, v10, 2.0, -v7
	;; [unrolled: 1-line block ×7, first 2 shown]
	v_fmamk_f16 v28, v9, 0xb9a8, v8
	v_fmamk_f16 v44, v2, 0xb9a8, v31
	v_add_f16_e32 v0, v29, v0
	v_sub_f16_e32 v27, v4, v1
	v_sub_f16_e32 v10, v26, v10
	v_fmac_f16_e32 v28, 0x39a8, v2
	v_fmac_f16_e32 v44, 0xb9a8, v9
	v_fmamk_f16 v1, v7, 0x39a8, v3
	v_fmamk_f16 v9, v6, 0x39a8, v42
	v_fma_f16 v2, v26, 2.0, -v10
	v_fma_f16 v26, v8, 2.0, -v28
	v_sub_f16_e32 v8, v5, v43
	v_fmac_f16_e32 v1, 0x39a8, v6
	v_fmac_f16_e32 v9, 0xb9a8, v7
	v_fma_f16 v4, v4, 2.0, -v27
	v_fma_f16 v6, v31, 2.0, -v44
	;; [unrolled: 1-line block ×6, first 2 shown]
	v_pack_b32_f16 v2, v4, v2
	v_pack_b32_f16 v4, v26, v6
	;; [unrolled: 1-line block ×8, first 2 shown]
	ds_write2_b32 v46, v2, v4 offset1:12
	ds_write2_b32 v46, v5, v3 offset0:24 offset1:36
	ds_write2_b32 v46, v6, v7 offset0:48 offset1:60
	;; [unrolled: 1-line block ×3, first 2 shown]
	v_add_nc_u32_e32 v4, 0x600, v41
	s_waitcnt lgkmcnt(0)
	s_barrier
	buffer_gl0_inv
	ds_read2_b32 v[2:3], v41 offset1:144
	ds_read2_b32 v[6:7], v4 offset1:144
	;; [unrolled: 1-line block ×3, first 2 shown]
	s_and_saveexec_b32 s0, vcc_lo
	s_cbranch_execz .LBB0_15
; %bb.14:
	v_add_nc_u32_e32 v0, 0x80, v41
	ds_read2st64_b32 v[0:1], v0 offset0:4 offset1:10
	ds_read_b32 v18, v41 offset:4224
	s_waitcnt lgkmcnt(1)
	v_lshrrev_b32_e32 v8, 16, v0
	v_lshrrev_b32_e32 v9, 16, v1
	s_waitcnt lgkmcnt(0)
	v_lshrrev_b32_e32 v19, 16, v18
.LBB0_15:
	s_or_b32 exec_lo, exec_lo, s0
	s_waitcnt lgkmcnt(1)
	v_lshrrev_b32_e32 v10, 16, v6
	s_waitcnt lgkmcnt(0)
	v_lshrrev_b32_e32 v27, 16, v4
	v_lshrrev_b32_e32 v29, 16, v7
	v_mul_f16_sdwa v31, v24, v6 dst_sel:DWORD dst_unused:UNUSED_PAD src0_sel:WORD_1 src1_sel:DWORD
	v_lshrrev_b32_e32 v42, 16, v5
	v_mul_f16_sdwa v30, v24, v10 dst_sel:DWORD dst_unused:UNUSED_PAD src0_sel:WORD_1 src1_sel:DWORD
	v_mul_f16_sdwa v43, v25, v27 dst_sel:DWORD dst_unused:UNUSED_PAD src0_sel:WORD_1 src1_sel:DWORD
	;; [unrolled: 1-line block ×3, first 2 shown]
	v_lshrrev_b32_e32 v26, 16, v2
	v_lshrrev_b32_e32 v28, 16, v3
	v_fmac_f16_e32 v30, v24, v6
	v_fma_f16 v6, v24, v10, -v31
	v_mul_f16_sdwa v10, v22, v29 dst_sel:DWORD dst_unused:UNUSED_PAD src0_sel:WORD_1 src1_sel:DWORD
	v_fmac_f16_e32 v43, v25, v4
	v_mul_f16_sdwa v4, v22, v7 dst_sel:DWORD dst_unused:UNUSED_PAD src0_sel:WORD_1 src1_sel:DWORD
	v_fma_f16 v24, v25, v27, -v44
	v_mul_f16_sdwa v25, v23, v42 dst_sel:DWORD dst_unused:UNUSED_PAD src0_sel:WORD_1 src1_sel:DWORD
	v_fmac_f16_e32 v10, v22, v7
	v_mul_f16_sdwa v7, v23, v5 dst_sel:DWORD dst_unused:UNUSED_PAD src0_sel:WORD_1 src1_sel:DWORD
	v_fma_f16 v4, v22, v29, -v4
	v_add_f16_e32 v22, v30, v43
	v_fmac_f16_e32 v25, v23, v5
	v_add_f16_e32 v5, v2, v30
	v_fma_f16 v7, v23, v42, -v7
	v_add_f16_e32 v23, v6, v24
	v_fma_f16 v2, -0.5, v22, v2
	v_sub_f16_e32 v22, v6, v24
	v_add_f16_e32 v6, v26, v6
	v_add_f16_e32 v29, v3, v10
	v_fmac_f16_e32 v26, -0.5, v23
	v_sub_f16_e32 v23, v30, v43
	v_fmamk_f16 v27, v22, 0xbaee, v2
	v_fmac_f16_e32 v2, 0x3aee, v22
	v_add_f16_e32 v6, v6, v24
	v_add_f16_e32 v22, v10, v25
	v_fmamk_f16 v24, v23, 0x3aee, v26
	v_fmac_f16_e32 v26, 0xbaee, v23
	v_add_f16_e32 v23, v4, v7
	v_sub_f16_e32 v10, v10, v25
	v_fmac_f16_e32 v3, -0.5, v22
	v_sub_f16_e32 v22, v4, v7
	v_add_f16_e32 v4, v28, v4
	v_fmac_f16_e32 v28, -0.5, v23
	v_add_f16_e32 v5, v5, v43
	v_add_f16_e32 v23, v29, v25
	v_fmamk_f16 v25, v22, 0xbaee, v3
	v_add_f16_e32 v4, v4, v7
	v_fmamk_f16 v7, v10, 0x3aee, v28
	v_fmac_f16_e32 v3, 0x3aee, v22
	v_fmac_f16_e32 v28, 0xbaee, v10
	v_pack_b32_f16 v5, v5, v6
	v_pack_b32_f16 v6, v27, v24
	;; [unrolled: 1-line block ×6, first 2 shown]
	s_barrier
	buffer_gl0_inv
	ds_write2_b32 v49, v5, v6 offset1:96
	ds_write_b32 v49, v2 offset:768
	ds_write2_b32 v48, v4, v7 offset1:96
	ds_write_b32 v48, v3 offset:768
	s_and_saveexec_b32 s0, vcc_lo
	s_cbranch_execz .LBB0_17
; %bb.16:
	v_mul_f16_sdwa v2, v20, v9 dst_sel:DWORD dst_unused:UNUSED_PAD src0_sel:WORD_1 src1_sel:DWORD
	v_mul_f16_sdwa v3, v21, v19 dst_sel:DWORD dst_unused:UNUSED_PAD src0_sel:WORD_1 src1_sel:DWORD
	;; [unrolled: 1-line block ×4, first 2 shown]
	v_fmac_f16_e32 v2, v20, v1
	v_fmac_f16_e32 v3, v21, v18
	v_fma_f16 v1, v20, v9, -v4
	v_fma_f16 v4, v21, v19, -v5
	v_add_f16_e32 v7, v3, v2
	v_sub_f16_e32 v5, v2, v3
	v_add_f16_e32 v6, v4, v1
	v_sub_f16_e32 v9, v1, v4
	v_add_f16_e32 v1, v1, v8
	v_add_f16_e32 v2, v0, v2
	v_fma_f16 v0, -0.5, v7, v0
	v_fma_f16 v6, -0.5, v6, v8
	v_mov_b32_e32 v7, 2
	v_add_f16_e32 v1, v4, v1
	v_add_f16_e32 v2, v3, v2
	v_fmamk_f16 v4, v9, 0xbaee, v0
	v_fmamk_f16 v3, v5, 0x3aee, v6
	v_fmac_f16_e32 v6, 0xbaee, v5
	v_lshlrev_b32_sdwa v5, v7, v47 dst_sel:DWORD dst_unused:UNUSED_PAD src0_sel:DWORD src1_sel:WORD_0
	v_fmac_f16_e32 v0, 0x3aee, v9
	v_pack_b32_f16 v1, v2, v1
	v_pack_b32_f16 v2, v4, v3
	v_add_nc_u32_e32 v3, 0xc00, v5
	v_pack_b32_f16 v0, v0, v6
	ds_write2_b32 v3, v1, v2 offset0:96 offset1:192
	ds_write_b32 v5, v0 offset:4224
.LBB0_17:
	s_or_b32 exec_lo, exec_lo, s0
	v_add_nc_u32_e32 v9, 0x400, v41
	v_add_nc_u32_e32 v10, 0x800, v41
	;; [unrolled: 1-line block ×3, first 2 shown]
	s_waitcnt lgkmcnt(0)
	s_barrier
	buffer_gl0_inv
	ds_read2_b32 v[0:1], v41 offset1:144
	ds_read2_b32 v[2:3], v9 offset0:32 offset1:176
	ds_read2_b32 v[5:6], v10 offset0:64 offset1:208
	;; [unrolled: 1-line block ×3, first 2 shown]
	s_mov_b32 s6, 0x1c71c71c
	s_mov_b32 s7, 0x3f4c71c7
	s_mul_i32 s3, s8, 0x480
	s_waitcnt lgkmcnt(3)
	v_lshrrev_b32_e32 v18, 16, v0
	s_waitcnt lgkmcnt(2)
	v_lshrrev_b32_e32 v20, 16, v2
	;; [unrolled: 2-line block ×3, first 2 shown]
	v_mul_f16_sdwa v26, v11, v2 dst_sel:DWORD dst_unused:UNUSED_PAD src0_sel:WORD_1 src1_sel:DWORD
	s_waitcnt lgkmcnt(0)
	v_lshrrev_b32_e32 v22, 16, v7
	v_mul_f16_sdwa v27, v12, v5 dst_sel:DWORD dst_unused:UNUSED_PAD src0_sel:WORD_1 src1_sel:DWORD
	v_lshrrev_b32_e32 v23, 16, v3
	v_lshrrev_b32_e32 v24, 16, v6
	;; [unrolled: 1-line block ×3, first 2 shown]
	v_mul_f16_sdwa v28, v13, v7 dst_sel:DWORD dst_unused:UNUSED_PAD src0_sel:WORD_1 src1_sel:DWORD
	v_mul_f16_sdwa v29, v14, v3 dst_sel:DWORD dst_unused:UNUSED_PAD src0_sel:WORD_1 src1_sel:DWORD
	;; [unrolled: 1-line block ×3, first 2 shown]
	v_fma_f16 v20, v11, v20, -v26
	v_mul_f16_sdwa v26, v12, v21 dst_sel:DWORD dst_unused:UNUSED_PAD src0_sel:WORD_1 src1_sel:DWORD
	v_fma_f16 v21, v12, v21, -v27
	v_mul_f16_sdwa v27, v13, v22 dst_sel:DWORD dst_unused:UNUSED_PAD src0_sel:WORD_1 src1_sel:DWORD
	v_mul_f16_sdwa v30, v15, v6 dst_sel:DWORD dst_unused:UNUSED_PAD src0_sel:WORD_1 src1_sel:DWORD
	;; [unrolled: 1-line block ×3, first 2 shown]
	v_fma_f16 v22, v13, v22, -v28
	v_mul_f16_sdwa v28, v14, v23 dst_sel:DWORD dst_unused:UNUSED_PAD src0_sel:WORD_1 src1_sel:DWORD
	v_fma_f16 v23, v14, v23, -v29
	v_mul_f16_sdwa v29, v15, v24 dst_sel:DWORD dst_unused:UNUSED_PAD src0_sel:WORD_1 src1_sel:DWORD
	v_fmac_f16_e32 v26, v12, v5
	v_mul_f16_sdwa v5, v16, v25 dst_sel:DWORD dst_unused:UNUSED_PAD src0_sel:WORD_1 src1_sel:DWORD
	v_fmac_f16_e32 v42, v11, v2
	v_fmac_f16_e32 v27, v13, v7
	v_lshrrev_b32_e32 v19, 16, v1
	v_fma_f16 v2, v15, v24, -v30
	v_fma_f16 v7, v16, v25, -v31
	v_fmac_f16_e32 v28, v14, v3
	v_fmac_f16_e32 v29, v15, v6
	;; [unrolled: 1-line block ×3, first 2 shown]
	v_sub_f16_e32 v11, v0, v26
	v_sub_f16_e32 v12, v42, v27
	;; [unrolled: 1-line block ×8, first 2 shown]
	v_fma_f16 v14, v42, 2.0, -v12
	v_fma_f16 v8, v20, 2.0, -v13
	v_add_f16_e32 v13, v11, v13
	v_sub_f16_e32 v12, v3, v12
	v_fma_f16 v0, v0, 2.0, -v11
	v_fma_f16 v6, v18, 2.0, -v3
	;; [unrolled: 1-line block ×8, first 2 shown]
	v_sub_f16_e32 v14, v0, v14
	v_sub_f16_e32 v8, v6, v8
	;; [unrolled: 1-line block ×4, first 2 shown]
	v_add_f16_e32 v7, v15, v7
	v_sub_f16_e32 v5, v2, v5
	v_pack_b32_f16 v3, v11, v3
	v_fma_f16 v0, v0, 2.0, -v14
	v_fma_f16 v6, v6, 2.0, -v8
	;; [unrolled: 1-line block ×4, first 2 shown]
	v_pack_b32_f16 v8, v14, v8
	v_fma_f16 v11, v15, 2.0, -v7
	v_fma_f16 v2, v2, 2.0, -v5
	ds_write_b32 v41, v3 offset:1152
	ds_write_b32 v41, v8 offset:2304
	v_pack_b32_f16 v3, v13, v12
	v_pack_b32_f16 v0, v0, v6
	;; [unrolled: 1-line block ×6, first 2 shown]
	ds_write_b32 v41, v3 offset:3456
	ds_write2_b32 v41, v0, v1 offset1:144
	ds_write_b32 v41, v2 offset:1728
	ds_write_b32 v41, v6 offset:2880
	;; [unrolled: 1-line block ×3, first 2 shown]
	s_waitcnt lgkmcnt(0)
	s_barrier
	buffer_gl0_inv
	ds_read2_b32 v[5:6], v41 offset1:144
	ds_read2_b32 v[2:3], v9 offset0:32 offset1:176
	v_mad_u64_u32 v[11:12], null, s10, v17, 0
	s_waitcnt lgkmcnt(1)
	v_lshrrev_b32_e32 v0, 16, v5
	v_mul_f16_sdwa v1, v40, v5 dst_sel:DWORD dst_unused:UNUSED_PAD src0_sel:WORD_1 src1_sel:DWORD
	s_waitcnt lgkmcnt(0)
	v_lshrrev_b32_e32 v13, 16, v2
	v_mul_f16_sdwa v7, v40, v0 dst_sel:DWORD dst_unused:UNUSED_PAD src0_sel:WORD_1 src1_sel:DWORD
	v_fma_f16 v0, v40, v0, -v1
	v_mul_f16_sdwa v15, v39, v13 dst_sel:DWORD dst_unused:UNUSED_PAD src0_sel:WORD_1 src1_sel:DWORD
	v_fmac_f16_e32 v7, v40, v5
	v_cvt_f32_f16_e32 v5, v0
	ds_read2_b32 v[0:1], v10 offset0:64 offset1:208
	v_fmac_f16_e32 v15, v39, v2
	v_cvt_f32_f16_e32 v9, v7
	v_cvt_f64_f32_e32 v[7:8], v5
	v_mul_f16_sdwa v5, v39, v2 dst_sel:DWORD dst_unused:UNUSED_PAD src0_sel:WORD_1 src1_sel:DWORD
	v_cvt_f32_f16_e32 v18, v15
	v_mov_b32_e32 v2, v12
	v_cvt_f64_f32_e32 v[9:10], v9
	v_fma_f16 v5, v39, v13, -v5
	v_cvt_f64_f32_e32 v[18:19], v18
	v_mad_u64_u32 v[13:14], null, s8, v38, 0
	v_mad_u64_u32 v[20:21], null, s11, v17, v[2:3]
	v_cvt_f32_f16_e32 v5, v5
	s_waitcnt lgkmcnt(0)
	v_lshrrev_b32_e32 v23, 16, v0
	v_cvt_f64_f32_e32 v[15:16], v5
	v_mov_b32_e32 v5, v14
	v_mov_b32_e32 v12, v20
	v_mul_f16_sdwa v14, v37, v23 dst_sel:DWORD dst_unused:UNUSED_PAD src0_sel:WORD_1 src1_sel:DWORD
	v_mul_f64 v[7:8], v[7:8], s[6:7]
	v_mad_u64_u32 v[21:22], null, s9, v38, v[5:6]
	v_lshlrev_b64 v[11:12], 2, v[11:12]
	v_mul_f64 v[9:10], v[9:10], s[6:7]
	v_fmac_f16_e32 v14, v37, v0
	v_mul_f16_sdwa v0, v37, v0 dst_sel:DWORD dst_unused:UNUSED_PAD src0_sel:WORD_1 src1_sel:DWORD
	v_mul_f64 v[17:18], v[18:19], s[6:7]
	v_cvt_f32_f16_e32 v2, v14
	v_mov_b32_e32 v14, v21
	v_fma_f16 v0, v37, v23, -v0
	v_cvt_f64_f32_e32 v[20:21], v2
	v_mul_f64 v[15:16], v[15:16], s[6:7]
	v_cvt_f32_f16_e32 v0, v0
	v_and_or_b32 v2, 0x1ff, v8, v7
	v_lshrrev_b32_e32 v7, 8, v8
	v_and_or_b32 v5, 0x1ff, v10, v9
	v_lshrrev_b32_e32 v19, 8, v10
	v_bfe_u32 v22, v10, 20, 11
	v_bfe_u32 v9, v8, 20, 11
	v_and_or_b32 v17, 0x1ff, v18, v17
	v_cmp_ne_u32_e32 vcc_lo, 0, v5
	v_lshrrev_b32_e32 v27, 8, v18
	v_sub_nc_u32_e32 v24, 0x3f1, v22
	v_add_nc_u32_e32 v22, 0xfffffc10, v22
	v_bfe_u32 v28, v18, 20, 11
	v_cndmask_b32_e64 v5, 0, 1, vcc_lo
	v_cmp_ne_u32_e32 vcc_lo, 0, v2
	v_lshrrev_b32_e32 v10, 16, v10
	v_lshrrev_b32_e32 v8, 16, v8
	v_sub_nc_u32_e32 v30, 0x3f1, v28
	v_and_or_b32 v5, 0xffe, v19, v5
	v_cndmask_b32_e64 v2, 0, 1, vcc_lo
	v_sub_nc_u32_e32 v19, 0x3f1, v9
	v_cmp_ne_u32_e32 vcc_lo, 0, v17
	v_add_nc_u32_e32 v9, 0xfffffc10, v9
	v_and_or_b32 v2, 0xffe, v7, v2
	v_med3_i32 v7, v24, 0, 13
	v_or_b32_e32 v24, 0x1000, v5
	v_med3_i32 v19, v19, 0, 13
	v_cndmask_b32_e64 v17, 0, 1, vcc_lo
	v_or_b32_e32 v25, 0x1000, v2
	v_lshrrev_b32_e32 v26, v7, v24
	v_and_or_b32 v17, 0xffe, v27, v17
	v_lshrrev_b32_e32 v29, v19, v25
	v_lshlrev_b32_e32 v7, v7, v26
	v_lshlrev_b32_e32 v19, v19, v29
	v_cmp_ne_u32_e32 vcc_lo, v7, v24
	v_lshl_or_b32 v24, v9, 12, v2
	v_cndmask_b32_e64 v7, 0, 1, vcc_lo
	v_cmp_ne_u32_e32 vcc_lo, v19, v25
	v_lshl_or_b32 v25, v22, 12, v5
	v_or_b32_e32 v7, v26, v7
	v_cndmask_b32_e64 v19, 0, 1, vcc_lo
	v_cmp_ne_u32_e32 vcc_lo, 0, v2
	v_or_b32_e32 v19, v29, v19
	v_cndmask_b32_e64 v2, 0, 1, vcc_lo
	v_cmp_gt_i32_e32 vcc_lo, 1, v22
	v_lshl_or_b32 v2, v2, 9, 0x7c00
	v_cndmask_b32_e32 v7, v25, v7, vcc_lo
	v_cmp_gt_i32_e32 vcc_lo, 1, v9
	v_med3_i32 v25, v30, 0, 13
	v_cndmask_b32_e32 v19, v24, v19, vcc_lo
	v_cmp_ne_u32_e32 vcc_lo, 0, v5
	v_and_b32_e32 v24, 7, v7
	v_lshrrev_b32_e32 v7, 2, v7
	v_and_b32_e32 v26, 7, v19
	v_cndmask_b32_e64 v5, 0, 1, vcc_lo
	v_cmp_lt_i32_e32 vcc_lo, 5, v24
	v_cmp_eq_u32_e64 s0, 3, v24
	v_lshrrev_b32_e32 v19, 2, v19
	v_cmp_lt_i32_e64 s1, 5, v26
	v_cmp_eq_u32_e64 s2, 3, v26
	v_lshl_or_b32 v5, v5, 9, 0x7c00
	s_or_b32 vcc_lo, s0, vcc_lo
	v_or_b32_e32 v24, 0x1000, v17
	v_add_co_ci_u32_e32 v7, vcc_lo, 0, v7, vcc_lo
	s_or_b32 vcc_lo, s2, s1
	s_mul_hi_u32 s2, s8, 0x480
	v_add_co_ci_u32_e32 v19, vcc_lo, 0, v19, vcc_lo
	v_cmp_gt_i32_e32 vcc_lo, 31, v22
	v_cndmask_b32_e32 v7, 0x7c00, v7, vcc_lo
	v_cmp_gt_i32_e32 vcc_lo, 31, v9
	v_cndmask_b32_e32 v19, 0x7c00, v19, vcc_lo
	v_cmp_eq_u32_e32 vcc_lo, 0x40f, v22
	v_add_nc_u32_e32 v22, 0xfffffc10, v28
	v_cndmask_b32_e32 v5, v7, v5, vcc_lo
	v_and_or_b32 v7, 0x1ff, v16, v15
	v_lshrrev_b32_e32 v15, v25, v24
	v_cmp_eq_u32_e32 vcc_lo, 0x40f, v9
	v_lshrrev_b32_e32 v9, 8, v16
	v_and_or_b32 v5, 0x8000, v10, v5
	v_lshlrev_b32_e32 v10, v25, v15
	v_cndmask_b32_e32 v2, v19, v2, vcc_lo
	v_cmp_ne_u32_e32 vcc_lo, 0, v7
	v_and_b32_e32 v5, 0xffff, v5
	v_bfe_u32 v19, v16, 20, 11
	v_lshrrev_b32_e32 v16, 16, v16
	v_and_or_b32 v2, 0x8000, v8, v2
	v_cndmask_b32_e64 v7, 0, 1, vcc_lo
	v_cmp_ne_u32_e32 vcc_lo, v10, v24
	v_lshl_or_b32 v2, v2, 16, v5
	v_cndmask_b32_e64 v8, 0, 1, vcc_lo
	v_add_co_u32 v5, vcc_lo, s4, v11
	v_add_co_ci_u32_e32 v11, vcc_lo, s5, v12, vcc_lo
	v_or_b32_e32 v10, v15, v8
	v_and_or_b32 v15, 0xffe, v9, v7
	v_sub_nc_u32_e32 v9, 0x3f1, v19
	v_lshl_or_b32 v12, v22, 12, v17
	v_lshlrev_b64 v[7:8], 2, v[13:14]
	v_cmp_gt_i32_e32 vcc_lo, 1, v22
	v_or_b32_e32 v13, 0x1000, v15
	v_med3_i32 v14, v9, 0, 13
	v_add_nc_u32_e32 v19, 0xfffffc10, v19
	v_cndmask_b32_e32 v12, v12, v10, vcc_lo
	v_mul_f64 v[9:10], v[20:21], s[6:7]
	v_add_co_u32 v7, vcc_lo, v5, v7
	v_add_co_ci_u32_e32 v8, vcc_lo, v11, v8, vcc_lo
	v_lshrrev_b32_e32 v5, v14, v13
	v_and_b32_e32 v11, 7, v12
	global_store_dword v[7:8], v2, off
	v_lshlrev_b32_e32 v2, v14, v5
	v_cmp_lt_i32_e32 vcc_lo, 5, v11
	v_cmp_eq_u32_e64 s0, 3, v11
	v_lshrrev_b32_e32 v14, 2, v12
	v_cvt_f64_f32_e32 v[11:12], v0
	v_cmp_ne_u32_e64 s1, v2, v13
	s_or_b32 vcc_lo, s0, vcc_lo
	v_add_co_ci_u32_e32 v0, vcc_lo, 0, v14, vcc_lo
	v_cndmask_b32_e64 v2, 0, 1, s1
	v_cmp_ne_u32_e32 vcc_lo, 0, v17
	v_and_or_b32 v9, 0x1ff, v10, v9
	v_lshrrev_b32_e32 v14, 8, v10
	v_bfe_u32 v17, v10, 20, 11
	v_or_b32_e32 v2, v5, v2
	v_lshl_or_b32 v5, v19, 12, v15
	v_cndmask_b32_e64 v13, 0, 1, vcc_lo
	v_cmp_gt_i32_e32 vcc_lo, 1, v19
	v_lshl_or_b32 v13, v13, 9, 0x7c00
	v_cndmask_b32_e32 v2, v5, v2, vcc_lo
	v_cmp_ne_u32_e32 vcc_lo, 0, v9
	ds_read2_b32 v[4:5], v4 offset0:96 offset1:240
	v_mul_f64 v[11:12], v[11:12], s[6:7]
	v_and_b32_e32 v20, 7, v2
	v_cndmask_b32_e64 v9, 0, 1, vcc_lo
	v_cmp_gt_i32_e32 vcc_lo, 31, v22
	v_lshrrev_b32_e32 v2, 2, v2
	v_cmp_eq_u32_e64 s0, 3, v20
	v_and_or_b32 v9, 0xffe, v14, v9
	v_cndmask_b32_e32 v0, 0x7c00, v0, vcc_lo
	v_cmp_eq_u32_e32 vcc_lo, 0x40f, v22
	v_sub_nc_u32_e32 v14, 0x3f1, v17
	v_add_nc_u32_e32 v17, 0xfffffc10, v17
	v_cndmask_b32_e32 v0, v0, v13, vcc_lo
	v_cmp_lt_i32_e32 vcc_lo, 5, v20
	v_lshrrev_b32_e32 v13, 16, v18
	v_or_b32_e32 v18, 0x1000, v9
	v_med3_i32 v14, v14, 0, 13
	s_waitcnt lgkmcnt(0)
	v_lshrrev_b32_e32 v21, 16, v4
	s_or_b32 vcc_lo, s0, vcc_lo
	v_and_or_b32 v0, 0x8000, v13, v0
	v_add_co_ci_u32_e32 v2, vcc_lo, 0, v2, vcc_lo
	v_lshrrev_b32_e32 v20, v14, v18
	v_cmp_ne_u32_e32 vcc_lo, 0, v15
	v_mul_f16_sdwa v15, v36, v21 dst_sel:DWORD dst_unused:UNUSED_PAD src0_sel:WORD_1 src1_sel:DWORD
	v_and_or_b32 v11, 0x1ff, v12, v11
	v_bfe_u32 v23, v12, 20, 11
	v_lshlrev_b32_e32 v14, v14, v20
	v_cndmask_b32_e64 v13, 0, 1, vcc_lo
	v_cmp_gt_i32_e32 vcc_lo, 31, v19
	v_fmac_f16_e32 v15, v36, v4
	v_and_b32_e32 v0, 0xffff, v0
	s_mul_i32 s0, s9, 0x480
	v_lshl_or_b32 v22, v13, 9, 0x7c00
	v_cndmask_b32_e32 v2, 0x7c00, v2, vcc_lo
	v_cmp_ne_u32_e32 vcc_lo, v14, v18
	v_cvt_f32_f16_e32 v13, v15
	v_lshrrev_b32_e32 v15, 8, v12
	s_add_i32 s2, s2, s0
	v_mul_f16_sdwa v4, v36, v4 dst_sel:DWORD dst_unused:UNUSED_PAD src0_sel:WORD_1 src1_sel:DWORD
	v_cndmask_b32_e64 v18, 0, 1, vcc_lo
	v_cmp_ne_u32_e32 vcc_lo, 0, v11
	v_cvt_f64_f32_e32 v[13:14], v13
	v_fma_f16 v4, v36, v21, -v4
	v_or_b32_e32 v18, v20, v18
	v_cndmask_b32_e64 v11, 0, 1, vcc_lo
	v_cmp_eq_u32_e32 vcc_lo, 0x40f, v19
	v_lshl_or_b32 v19, v17, 12, v9
	v_cvt_f32_f16_e32 v4, v4
	v_and_or_b32 v11, 0xffe, v15, v11
	v_cndmask_b32_e32 v2, v2, v22, vcc_lo
	v_sub_nc_u32_e32 v15, 0x3f1, v23
	v_cmp_gt_i32_e32 vcc_lo, 1, v17
	v_and_or_b32 v2, 0x8000, v16, v2
	v_med3_i32 v15, v15, 0, 13
	v_cndmask_b32_e32 v18, v19, v18, vcc_lo
	v_or_b32_e32 v19, 0x1000, v11
	v_lshl_or_b32 v0, v2, 16, v0
	v_and_b32_e32 v16, 7, v18
	v_lshrrev_b32_e32 v20, v15, v19
	v_mul_f64 v[13:14], v[13:14], s[6:7]
	v_cmp_lt_i32_e32 vcc_lo, 5, v16
	v_lshlrev_b32_e32 v2, v15, v20
	v_cmp_eq_u32_e64 s0, 3, v16
	v_lshrrev_b32_e32 v15, 2, v18
	v_add_nc_u32_e32 v18, 0xfffffc10, v23
	v_cmp_ne_u32_e64 s1, v2, v19
	s_or_b32 vcc_lo, s0, vcc_lo
	v_add_co_ci_u32_e32 v19, vcc_lo, 0, v15, vcc_lo
	v_cndmask_b32_e64 v2, 0, 1, s1
	v_cmp_ne_u32_e32 vcc_lo, 0, v9
	v_lshl_or_b32 v15, v18, 12, v11
	v_or_b32_e32 v2, v20, v2
	v_cndmask_b32_e64 v9, 0, 1, vcc_lo
	v_cmp_gt_i32_e32 vcc_lo, 1, v18
	v_and_or_b32 v13, 0x1ff, v14, v13
	v_lshl_or_b32 v9, v9, 9, 0x7c00
	v_cndmask_b32_e32 v2, v15, v2, vcc_lo
	v_cvt_f64_f32_e32 v[15:16], v4
	v_cmp_gt_i32_e32 vcc_lo, 31, v17
	v_cmp_ne_u32_e64 s1, 0, v13
	v_lshrrev_b32_e32 v13, 8, v14
	v_cndmask_b32_e32 v4, 0x7c00, v19, vcc_lo
	v_and_b32_e32 v19, 7, v2
	v_cmp_eq_u32_e32 vcc_lo, 0x40f, v17
	v_lshrrev_b32_e32 v2, 2, v2
	v_bfe_u32 v17, v14, 20, 11
	v_cmp_eq_u32_e64 s0, 3, v19
	v_cndmask_b32_e32 v4, v4, v9, vcc_lo
	v_cmp_lt_i32_e32 vcc_lo, 5, v19
	v_lshrrev_b32_e32 v19, 16, v6
	v_cndmask_b32_e64 v9, 0, 1, s1
	s_or_b32 vcc_lo, s0, vcc_lo
	v_mul_f16_sdwa v20, v35, v19 dst_sel:DWORD dst_unused:UNUSED_PAD src0_sel:WORD_1 src1_sel:DWORD
	v_add_co_ci_u32_e32 v2, vcc_lo, 0, v2, vcc_lo
	v_mul_f64 v[15:16], v[15:16], s[6:7]
	v_cmp_ne_u32_e32 vcc_lo, 0, v11
	v_and_or_b32 v13, 0xffe, v13, v9
	v_sub_nc_u32_e32 v9, 0x3f1, v17
	v_fmac_f16_e32 v20, v35, v6
	v_add_nc_u32_e32 v17, 0xfffffc10, v17
	v_cndmask_b32_e64 v11, 0, 1, vcc_lo
	v_cmp_gt_i32_e32 vcc_lo, 31, v18
	v_or_b32_e32 v21, 0x1000, v13
	v_med3_i32 v22, v9, 0, 13
	v_mul_f16_sdwa v6, v35, v6 dst_sel:DWORD dst_unused:UNUSED_PAD src0_sel:WORD_1 src1_sel:DWORD
	v_lshl_or_b32 v9, v11, 9, 0x7c00
	v_cndmask_b32_e32 v2, 0x7c00, v2, vcc_lo
	v_cvt_f32_f16_e32 v11, v20
	v_cmp_eq_u32_e32 vcc_lo, 0x40f, v18
	v_lshrrev_b32_e32 v23, v22, v21
	v_lshrrev_b32_e32 v20, 16, v10
	v_fma_f16 v6, v35, v19, -v6
	v_cndmask_b32_e32 v2, v2, v9, vcc_lo
	v_cvt_f64_f32_e32 v[9:10], v11
	v_lshrrev_b32_e32 v11, 16, v12
	v_lshlrev_b32_e32 v12, v22, v23
	v_add_co_u32 v7, vcc_lo, v7, s3
	v_add_co_ci_u32_e32 v8, vcc_lo, s2, v8, vcc_lo
	v_and_or_b32 v15, 0x1ff, v16, v15
	v_cmp_ne_u32_e32 vcc_lo, v12, v21
	v_and_or_b32 v2, 0x8000, v11, v2
	v_bfe_u32 v18, v16, 20, 11
	v_and_or_b32 v4, 0x8000, v20, v4
	v_lshl_or_b32 v20, v17, 12, v13
	v_cndmask_b32_e64 v11, 0, 1, vcc_lo
	v_cmp_ne_u32_e32 vcc_lo, 0, v15
	v_lshrrev_b32_e32 v15, 8, v16
	v_and_b32_e32 v4, 0xffff, v4
	global_store_dword v[7:8], v0, off
	v_or_b32_e32 v11, v23, v11
	v_cndmask_b32_e64 v12, 0, 1, vcc_lo
	v_cmp_gt_i32_e32 vcc_lo, 1, v17
	v_lshl_or_b32 v0, v2, 16, v4
	v_mul_f64 v[9:10], v[9:10], s[6:7]
	v_and_or_b32 v15, 0xffe, v15, v12
	v_sub_nc_u32_e32 v12, 0x3f1, v18
	v_cndmask_b32_e32 v20, v20, v11, vcc_lo
	v_add_nc_u32_e32 v18, 0xfffffc10, v18
	v_or_b32_e32 v21, 0x1000, v15
	v_med3_i32 v11, v12, 0, 13
	v_cvt_f32_f16_e32 v12, v6
	v_add_co_u32 v6, vcc_lo, v7, s3
	v_and_b32_e32 v2, 7, v20
	v_lshrrev_b32_e32 v4, v11, v21
	v_add_co_ci_u32_e32 v7, vcc_lo, s2, v8, vcc_lo
	v_cmp_lt_i32_e32 vcc_lo, 5, v2
	v_lshlrev_b32_e32 v8, v11, v4
	v_cvt_f64_f32_e32 v[11:12], v12
	v_cmp_eq_u32_e64 s0, 3, v2
	v_lshrrev_b32_e32 v2, 2, v20
	v_and_or_b32 v9, 0x1ff, v10, v9
	v_cmp_ne_u32_e64 s1, v8, v21
	v_bfe_u32 v19, v10, 20, 11
	s_or_b32 vcc_lo, s0, vcc_lo
	v_lshl_or_b32 v20, v18, 12, v15
	v_add_co_ci_u32_e32 v2, vcc_lo, 0, v2, vcc_lo
	v_cndmask_b32_e64 v8, 0, 1, s1
	v_cmp_ne_u32_e32 vcc_lo, 0, v9
	v_lshrrev_b32_e32 v9, 8, v10
	v_sub_nc_u32_e32 v22, 0x3f1, v19
	v_add_nc_u32_e32 v19, 0xfffffc10, v19
	v_or_b32_e32 v4, v4, v8
	v_cndmask_b32_e64 v8, 0, 1, vcc_lo
	v_cmp_ne_u32_e32 vcc_lo, 0, v13
	global_store_dword v[6:7], v0, off
	v_lshrrev_b32_e32 v10, 16, v10
	v_and_or_b32 v21, 0xffe, v9, v8
	v_mul_f64 v[8:9], v[11:12], s[6:7]
	v_cndmask_b32_e64 v13, 0, 1, vcc_lo
	v_cmp_gt_i32_e32 vcc_lo, 1, v18
	v_med3_i32 v12, v22, 0, 13
	v_or_b32_e32 v11, 0x1000, v21
	v_lshl_or_b32 v13, v13, 9, 0x7c00
	v_cndmask_b32_e32 v4, v20, v4, vcc_lo
	v_lshrrev_b32_e32 v20, 16, v3
	v_cmp_gt_i32_e32 vcc_lo, 31, v17
	v_lshrrev_b32_e32 v24, v12, v11
	v_and_b32_e32 v22, 7, v4
	v_mul_f16_sdwa v23, v34, v20 dst_sel:DWORD dst_unused:UNUSED_PAD src0_sel:WORD_1 src1_sel:DWORD
	v_cndmask_b32_e32 v2, 0x7c00, v2, vcc_lo
	v_cmp_eq_u32_e32 vcc_lo, 0x40f, v17
	v_lshlrev_b32_e32 v12, v12, v24
	v_cmp_eq_u32_e64 s0, 3, v22
	v_fmac_f16_e32 v23, v34, v3
	v_lshrrev_b32_e32 v4, 2, v4
	v_cndmask_b32_e32 v2, v2, v13, vcc_lo
	v_cmp_lt_i32_e32 vcc_lo, 5, v22
	v_lshrrev_b32_e32 v13, 16, v14
	v_cvt_f32_f16_e32 v14, v23
	v_and_or_b32 v8, 0x1ff, v9, v8
	v_cmp_ne_u32_e64 s1, v12, v11
	s_or_b32 vcc_lo, s0, vcc_lo
	v_lshrrev_b32_e32 v22, 8, v9
	v_cvt_f64_f32_e32 v[11:12], v14
	v_add_co_ci_u32_e32 v4, vcc_lo, 0, v4, vcc_lo
	v_cmp_ne_u32_e32 vcc_lo, 0, v8
	v_cndmask_b32_e64 v17, 0, 1, s1
	v_bfe_u32 v23, v9, 20, 11
	v_and_or_b32 v2, 0x8000, v13, v2
	v_mul_f16_sdwa v3, v34, v3 dst_sel:DWORD dst_unused:UNUSED_PAD src0_sel:WORD_1 src1_sel:DWORD
	v_cndmask_b32_e64 v8, 0, 1, vcc_lo
	v_cmp_ne_u32_e32 vcc_lo, 0, v15
	v_or_b32_e32 v14, v24, v17
	v_lshl_or_b32 v17, v19, 12, v21
	v_fma_f16 v3, v34, v20, -v3
	v_and_or_b32 v8, 0xffe, v22, v8
	v_cndmask_b32_e64 v15, 0, 1, vcc_lo
	v_cmp_gt_i32_e32 vcc_lo, 1, v19
	v_or_b32_e32 v24, 0x1000, v8
	v_lshl_or_b32 v15, v15, 9, 0x7c00
	v_cndmask_b32_e32 v14, v17, v14, vcc_lo
	v_cmp_gt_i32_e32 vcc_lo, 31, v18
	v_sub_nc_u32_e32 v17, 0x3f1, v23
	v_mul_f64 v[11:12], v[11:12], s[6:7]
	v_and_b32_e32 v22, 7, v14
	v_cndmask_b32_e32 v4, 0x7c00, v4, vcc_lo
	v_cmp_eq_u32_e32 vcc_lo, 0x40f, v18
	v_med3_i32 v17, v17, 0, 13
	v_lshrrev_b32_e32 v14, 2, v14
	v_cmp_eq_u32_e64 s0, 3, v22
	v_cndmask_b32_e32 v4, v4, v15, vcc_lo
	v_cmp_lt_i32_e32 vcc_lo, 5, v22
	v_lshrrev_b32_e32 v15, 16, v16
	v_lshrrev_b32_e32 v13, v17, v24
	s_or_b32 vcc_lo, s0, vcc_lo
	v_and_or_b32 v4, 0x8000, v15, v4
	v_add_co_ci_u32_e32 v14, vcc_lo, 0, v14, vcc_lo
	v_and_b32_e32 v15, 0xffff, v2
	v_lshlrev_b32_e32 v2, v17, v13
	v_cmp_ne_u32_e32 vcc_lo, 0, v21
	v_and_or_b32 v11, 0x1ff, v12, v11
	v_add_nc_u32_e32 v17, 0xfffffc10, v23
	v_lshrrev_b32_e32 v18, 8, v12
	v_bfe_u32 v20, v12, 20, 11
	v_cndmask_b32_e64 v16, 0, 1, vcc_lo
	v_cmp_ne_u32_e32 vcc_lo, v2, v24
	v_lshl_or_b32 v21, v17, 12, v8
	v_lshl_or_b32 v15, v4, 16, v15
	v_lshrrev_b32_e32 v12, 16, v12
	v_lshl_or_b32 v16, v16, 9, 0x7c00
	v_cndmask_b32_e64 v2, 0, 1, vcc_lo
	v_cmp_gt_i32_e32 vcc_lo, 31, v19
	v_or_b32_e32 v13, v13, v2
	v_cndmask_b32_e32 v14, 0x7c00, v14, vcc_lo
	v_cmp_ne_u32_e32 vcc_lo, 0, v11
	v_cvt_f32_f16_e32 v2, v3
	v_cndmask_b32_e64 v11, 0, 1, vcc_lo
	v_cmp_eq_u32_e32 vcc_lo, 0x40f, v19
	v_cvt_f64_f32_e32 v[2:3], v2
	v_cndmask_b32_e32 v14, v14, v16, vcc_lo
	v_cmp_gt_i32_e32 vcc_lo, 1, v17
	v_and_or_b32 v16, 0xffe, v18, v11
	v_sub_nc_u32_e32 v11, 0x3f1, v20
	v_and_or_b32 v4, 0x8000, v10, v14
	v_cndmask_b32_e32 v13, v21, v13, vcc_lo
	v_or_b32_e32 v18, 0x1000, v16
	v_med3_i32 v11, v11, 0, 13
	v_lshrrev_b32_e32 v14, 16, v1
	v_and_b32_e32 v4, 0xffff, v4
	v_and_b32_e32 v0, 7, v13
	v_lshrrev_b32_e32 v10, v11, v18
	v_cmp_lt_i32_e32 vcc_lo, 5, v0
	v_cmp_eq_u32_e64 s0, 3, v0
	v_lshrrev_b32_e32 v0, 2, v13
	v_lshlrev_b32_e32 v11, v11, v10
	v_mul_f16_sdwa v13, v33, v14 dst_sel:DWORD dst_unused:UNUSED_PAD src0_sel:WORD_1 src1_sel:DWORD
	v_mul_f64 v[2:3], v[2:3], s[6:7]
	s_or_b32 vcc_lo, s0, vcc_lo
	v_add_co_ci_u32_e32 v0, vcc_lo, 0, v0, vcc_lo
	v_cmp_ne_u32_e32 vcc_lo, 0, v8
	v_fmac_f16_e32 v13, v33, v1
	v_mul_f16_sdwa v1, v33, v1 dst_sel:DWORD dst_unused:UNUSED_PAD src0_sel:WORD_1 src1_sel:DWORD
	v_cndmask_b32_e64 v8, 0, 1, vcc_lo
	v_cmp_ne_u32_e32 vcc_lo, v11, v18
	v_cvt_f32_f16_e32 v13, v13
	v_add_nc_u32_e32 v18, 0xfffffc10, v20
	v_fma_f16 v1, v33, v14, -v1
	v_lshl_or_b32 v8, v8, 9, 0x7c00
	v_cndmask_b32_e64 v11, 0, 1, vcc_lo
	v_cmp_gt_i32_e32 vcc_lo, 31, v17
	v_lshl_or_b32 v20, v18, 12, v16
	v_or_b32_e32 v19, v10, v11
	v_cndmask_b32_e32 v0, 0x7c00, v0, vcc_lo
	v_cmp_eq_u32_e32 vcc_lo, 0x40f, v17
	v_cvt_f64_f32_e32 v[10:11], v13
	v_and_or_b32 v2, 0x1ff, v3, v2
	v_bfe_u32 v17, v3, 20, 11
	v_cndmask_b32_e32 v0, v0, v8, vcc_lo
	v_cmp_gt_i32_e32 vcc_lo, 1, v18
	v_lshrrev_b32_e32 v8, 16, v9
	v_lshrrev_b32_e32 v9, 8, v3
	v_add_nc_u32_e32 v14, 0xfffffc10, v17
	v_cndmask_b32_e32 v13, v20, v19, vcc_lo
	v_add_co_u32 v6, vcc_lo, v6, s3
	v_add_co_ci_u32_e32 v7, vcc_lo, s2, v7, vcc_lo
	v_cmp_ne_u32_e32 vcc_lo, 0, v2
	v_and_or_b32 v0, 0x8000, v8, v0
	v_and_b32_e32 v8, 7, v13
	v_cndmask_b32_e64 v2, 0, 1, vcc_lo
	v_lshl_or_b32 v19, v0, 16, v4
	v_cmp_lt_i32_e32 vcc_lo, 5, v8
	v_cmp_eq_u32_e64 s0, 3, v8
	v_lshrrev_b32_e32 v4, 2, v13
	v_and_or_b32 v2, 0xffe, v9, v2
	v_mul_f64 v[8:9], v[10:11], s[6:7]
	v_sub_nc_u32_e32 v0, 0x3f1, v17
	s_or_b32 vcc_lo, s0, vcc_lo
	v_mad_u64_u32 v[10:11], null, 0xfffff4c0, s8, v[6:7]
	v_add_co_ci_u32_e32 v4, vcc_lo, 0, v4, vcc_lo
	v_or_b32_e32 v13, 0x1000, v2
	v_med3_i32 v0, v0, 0, 13
	v_cmp_ne_u32_e32 vcc_lo, 0, v16
	s_mul_i32 s0, s9, 0xfffff4c0
	s_sub_i32 s0, s0, s8
	v_lshrrev_b32_e32 v20, v0, v13
	v_cndmask_b32_e64 v16, 0, 1, vcc_lo
	v_cmp_gt_i32_e32 vcc_lo, 31, v18
	v_add_nc_u32_e32 v11, s0, v11
	v_lshlrev_b32_e32 v0, v0, v20
	v_lshl_or_b32 v16, v16, 9, 0x7c00
	v_cndmask_b32_e32 v4, 0x7c00, v4, vcc_lo
	v_cmp_eq_u32_e32 vcc_lo, 0x40f, v18
	v_and_or_b32 v8, 0x1ff, v9, v8
	v_bfe_u32 v17, v9, 20, 11
	v_lshl_or_b32 v18, v14, 12, v2
	v_cndmask_b32_e32 v4, v4, v16, vcc_lo
	v_cmp_ne_u32_e32 vcc_lo, v0, v13
	v_cvt_f32_f16_e32 v0, v1
	v_lshrrev_b32_e32 v16, 8, v9
	v_lshrrev_b32_e32 v9, 16, v9
	v_and_or_b32 v23, 0x8000, v12, v4
	v_cndmask_b32_e64 v13, 0, 1, vcc_lo
	v_cmp_ne_u32_e32 vcc_lo, 0, v8
	v_cvt_f64_f32_e32 v[0:1], v0
	v_or_b32_e32 v13, v20, v13
	v_cndmask_b32_e64 v8, 0, 1, vcc_lo
	v_cmp_gt_i32_e32 vcc_lo, 1, v14
	v_lshrrev_b32_e32 v20, 16, v5
	v_and_or_b32 v8, 0xffe, v16, v8
	v_sub_nc_u32_e32 v16, 0x3f1, v17
	v_cndmask_b32_e32 v13, v18, v13, vcc_lo
	v_mul_f16_sdwa v21, v32, v20 dst_sel:DWORD dst_unused:UNUSED_PAD src0_sel:WORD_1 src1_sel:DWORD
	v_add_nc_u32_e32 v17, 0xfffffc10, v17
	v_or_b32_e32 v18, 0x1000, v8
	v_med3_i32 v16, v16, 0, 13
	v_and_b32_e32 v22, 7, v13
	v_fmac_f16_e32 v21, v32, v5
	v_lshrrev_b32_e32 v12, 2, v13
	v_mul_f16_sdwa v5, v32, v5 dst_sel:DWORD dst_unused:UNUSED_PAD src0_sel:WORD_1 src1_sel:DWORD
	v_lshrrev_b32_e32 v4, v16, v18
	v_cmp_lt_i32_e32 vcc_lo, 5, v22
	v_cmp_eq_u32_e64 s0, 3, v22
	v_cvt_f32_f16_e32 v13, v21
	v_mul_f64 v[0:1], v[0:1], s[6:7]
	v_lshlrev_b32_e32 v16, v16, v4
	v_fma_f16 v5, v32, v20, -v5
	s_or_b32 vcc_lo, s0, vcc_lo
	v_add_co_ci_u32_e32 v21, vcc_lo, 0, v12, vcc_lo
	v_cmp_ne_u32_e32 vcc_lo, v16, v18
	v_cvt_f64_f32_e32 v[12:13], v13
	v_cndmask_b32_e64 v16, 0, 1, vcc_lo
	v_cmp_ne_u32_e32 vcc_lo, 0, v2
	v_or_b32_e32 v4, v4, v16
	v_cndmask_b32_e64 v2, 0, 1, vcc_lo
	v_cmp_gt_i32_e32 vcc_lo, 31, v14
	v_lshl_or_b32 v16, v17, 12, v8
	v_and_or_b32 v0, 0x1ff, v1, v0
	v_lshl_or_b32 v2, v2, 9, 0x7c00
	v_cndmask_b32_e32 v18, 0x7c00, v21, vcc_lo
	v_cmp_gt_i32_e32 vcc_lo, 1, v17
	v_cndmask_b32_e32 v16, v16, v4, vcc_lo
	v_cvt_f32_f16_e32 v4, v5
	v_cmp_eq_u32_e32 vcc_lo, 0x40f, v14
	v_and_b32_e32 v20, 7, v16
	v_lshrrev_b32_e32 v16, 2, v16
	v_cndmask_b32_e32 v14, v18, v2, vcc_lo
	v_lshrrev_b32_e32 v18, 16, v3
	v_cvt_f64_f32_e32 v[2:3], v4
	v_mul_f64 v[4:5], v[12:13], s[6:7]
	v_cmp_ne_u32_e32 vcc_lo, 0, v0
	v_lshrrev_b32_e32 v12, 8, v1
	v_bfe_u32 v13, v1, 20, 11
	v_cmp_eq_u32_e64 s0, 3, v20
	v_and_or_b32 v14, 0x8000, v18, v14
	v_cndmask_b32_e64 v0, 0, 1, vcc_lo
	v_cmp_lt_i32_e32 vcc_lo, 5, v20
	v_and_b32_e32 v18, 0xffff, v23
	v_lshrrev_b32_e32 v1, 16, v1
	v_and_or_b32 v0, 0xffe, v12, v0
	v_sub_nc_u32_e32 v12, 0x3f1, v13
	s_or_b32 vcc_lo, s0, vcc_lo
	v_lshl_or_b32 v14, v14, 16, v18
	v_add_co_ci_u32_e32 v16, vcc_lo, 0, v16, vcc_lo
	v_or_b32_e32 v18, 0x1000, v0
	v_med3_i32 v12, v12, 0, 13
	v_cmp_ne_u32_e32 vcc_lo, 0, v8
	v_add_nc_u32_e32 v13, 0xfffffc10, v13
	v_mul_f64 v[2:3], v[2:3], s[6:7]
	v_and_or_b32 v4, 0x1ff, v5, v4
	v_lshrrev_b32_e32 v20, v12, v18
	v_cndmask_b32_e64 v8, 0, 1, vcc_lo
	v_cmp_gt_i32_e32 vcc_lo, 31, v17
	v_lshrrev_b32_e32 v21, 8, v5
	v_bfe_u32 v22, v5, 20, 11
	v_lshlrev_b32_e32 v12, v12, v20
	v_lshl_or_b32 v8, v8, 9, 0x7c00
	v_cndmask_b32_e32 v16, 0x7c00, v16, vcc_lo
	v_cmp_ne_u32_e32 vcc_lo, 0, v4
	v_lshrrev_b32_e32 v5, 16, v5
	v_cndmask_b32_e64 v4, 0, 1, vcc_lo
	v_cmp_ne_u32_e32 vcc_lo, v12, v18
	v_sub_nc_u32_e32 v18, 0x3f1, v22
	v_and_or_b32 v4, 0xffe, v21, v4
	v_cndmask_b32_e64 v12, 0, 1, vcc_lo
	v_cmp_eq_u32_e32 vcc_lo, 0x40f, v17
	v_med3_i32 v18, v18, 0, 13
	v_and_or_b32 v2, 0x1ff, v3, v2
	v_or_b32_e32 v17, 0x1000, v4
	v_or_b32_e32 v12, v20, v12
	v_cndmask_b32_e32 v8, v16, v8, vcc_lo
	v_lshl_or_b32 v16, v13, 12, v0
	v_cmp_gt_i32_e32 vcc_lo, 1, v13
	v_lshrrev_b32_e32 v20, 8, v3
	v_bfe_u32 v21, v3, 20, 11
	v_and_or_b32 v8, 0x8000, v9, v8
	v_lshrrev_b32_e32 v3, 16, v3
	v_cndmask_b32_e32 v12, v16, v12, vcc_lo
	v_lshrrev_b32_e32 v16, v18, v17
	v_cmp_ne_u32_e32 vcc_lo, 0, v2
	v_sub_nc_u32_e32 v9, 0x3f1, v21
	v_and_b32_e32 v8, 0xffff, v8
	v_and_b32_e32 v23, 7, v12
	v_lshlrev_b32_e32 v18, v18, v16
	v_cndmask_b32_e64 v2, 0, 1, vcc_lo
	v_lshrrev_b32_e32 v12, 2, v12
	v_med3_i32 v9, v9, 0, 13
	v_cmp_lt_i32_e32 vcc_lo, 5, v23
	v_cmp_ne_u32_e64 s0, v18, v17
	v_and_or_b32 v2, 0xffe, v20, v2
	v_add_nc_u32_e32 v20, 0xfffffc10, v22
	v_cndmask_b32_e64 v17, 0, 1, s0
	v_cmp_eq_u32_e64 s0, 3, v23
	v_or_b32_e32 v18, 0x1000, v2
	v_lshl_or_b32 v22, v20, 12, v4
	v_or_b32_e32 v16, v16, v17
	s_or_b32 vcc_lo, s0, vcc_lo
	v_lshrrev_b32_e32 v17, v9, v18
	v_add_co_ci_u32_e32 v12, vcc_lo, 0, v12, vcc_lo
	v_cmp_gt_i32_e32 vcc_lo, 1, v20
	v_lshlrev_b32_e32 v9, v9, v17
	v_cndmask_b32_e32 v16, v22, v16, vcc_lo
	v_cmp_ne_u32_e32 vcc_lo, 0, v0
	v_cndmask_b32_e64 v0, 0, 1, vcc_lo
	v_cmp_ne_u32_e32 vcc_lo, v9, v18
	v_add_nc_u32_e32 v18, 0xfffffc10, v21
	v_and_b32_e32 v21, 7, v16
	v_lshl_or_b32 v0, v0, 9, 0x7c00
	v_cndmask_b32_e64 v9, 0, 1, vcc_lo
	v_cmp_gt_i32_e32 vcc_lo, 31, v13
	v_cmp_gt_i32_e64 s1, 1, v18
	v_cmp_eq_u32_e64 s0, 3, v21
	v_or_b32_e32 v9, v17, v9
	v_lshl_or_b32 v17, v18, 12, v2
	v_cndmask_b32_e32 v12, 0x7c00, v12, vcc_lo
	v_cmp_lt_i32_e32 vcc_lo, 5, v21
	v_cndmask_b32_e64 v9, v17, v9, s1
	v_cmp_eq_u32_e64 s1, 0x40f, v13
	s_or_b32 vcc_lo, s0, vcc_lo
	v_and_b32_e32 v13, 7, v9
	v_cndmask_b32_e64 v0, v12, v0, s1
	v_lshrrev_b32_e32 v12, 2, v16
	v_lshrrev_b32_e32 v9, 2, v9
	v_cmp_gt_i32_e64 s1, 31, v20
	v_cmp_eq_u32_e64 s0, 3, v13
	v_add_co_ci_u32_e32 v12, vcc_lo, 0, v12, vcc_lo
	v_cmp_ne_u32_e32 vcc_lo, 0, v4
	v_cndmask_b32_e64 v12, 0x7c00, v12, s1
	v_cndmask_b32_e64 v4, 0, 1, vcc_lo
	v_cmp_lt_i32_e32 vcc_lo, 5, v13
	v_lshl_or_b32 v4, v4, 9, 0x7c00
	s_or_b32 vcc_lo, s0, vcc_lo
	v_add_co_ci_u32_e32 v9, vcc_lo, 0, v9, vcc_lo
	v_cmp_ne_u32_e32 vcc_lo, 0, v2
	v_cndmask_b32_e64 v2, 0, 1, vcc_lo
	v_cmp_eq_u32_e32 vcc_lo, 0x40f, v20
	v_lshl_or_b32 v2, v2, 9, 0x7c00
	v_cndmask_b32_e32 v4, v12, v4, vcc_lo
	v_cmp_gt_i32_e32 vcc_lo, 31, v18
	v_and_or_b32 v12, 0x8000, v1, v0
	v_and_or_b32 v4, 0x8000, v5, v4
	v_cndmask_b32_e32 v9, 0x7c00, v9, vcc_lo
	v_cmp_eq_u32_e32 vcc_lo, 0x40f, v18
	v_lshl_or_b32 v8, v12, 16, v8
	v_and_b32_e32 v4, 0xffff, v4
	v_cndmask_b32_e32 v2, v9, v2, vcc_lo
	v_add_co_u32 v0, vcc_lo, v10, s3
	v_add_co_ci_u32_e32 v1, vcc_lo, s2, v11, vcc_lo
	v_and_or_b32 v5, 0x8000, v3, v2
	v_add_co_u32 v2, vcc_lo, v0, s3
	v_add_co_ci_u32_e32 v3, vcc_lo, s2, v1, vcc_lo
	v_lshl_or_b32 v9, v5, 16, v4
	v_add_co_u32 v4, vcc_lo, v2, s3
	v_add_co_ci_u32_e32 v5, vcc_lo, s2, v3, vcc_lo
	global_store_dword v[6:7], v15, off
	global_store_dword v[10:11], v19, off
	;; [unrolled: 1-line block ×5, first 2 shown]
.LBB0_18:
	s_endpgm
	.section	.rodata,"a",@progbits
	.p2align	6, 0x0
	.amdhsa_kernel bluestein_single_back_len1152_dim1_half_op_CI_CI
		.amdhsa_group_segment_fixed_size 4608
		.amdhsa_private_segment_fixed_size 0
		.amdhsa_kernarg_size 104
		.amdhsa_user_sgpr_count 6
		.amdhsa_user_sgpr_private_segment_buffer 1
		.amdhsa_user_sgpr_dispatch_ptr 0
		.amdhsa_user_sgpr_queue_ptr 0
		.amdhsa_user_sgpr_kernarg_segment_ptr 1
		.amdhsa_user_sgpr_dispatch_id 0
		.amdhsa_user_sgpr_flat_scratch_init 0
		.amdhsa_user_sgpr_private_segment_size 0
		.amdhsa_wavefront_size32 1
		.amdhsa_uses_dynamic_stack 0
		.amdhsa_system_sgpr_private_segment_wavefront_offset 0
		.amdhsa_system_sgpr_workgroup_id_x 1
		.amdhsa_system_sgpr_workgroup_id_y 0
		.amdhsa_system_sgpr_workgroup_id_z 0
		.amdhsa_system_sgpr_workgroup_info 0
		.amdhsa_system_vgpr_workitem_id 0
		.amdhsa_next_free_vgpr 76
		.amdhsa_next_free_sgpr 20
		.amdhsa_reserve_vcc 1
		.amdhsa_reserve_flat_scratch 0
		.amdhsa_float_round_mode_32 0
		.amdhsa_float_round_mode_16_64 0
		.amdhsa_float_denorm_mode_32 3
		.amdhsa_float_denorm_mode_16_64 3
		.amdhsa_dx10_clamp 1
		.amdhsa_ieee_mode 1
		.amdhsa_fp16_overflow 0
		.amdhsa_workgroup_processor_mode 1
		.amdhsa_memory_ordered 1
		.amdhsa_forward_progress 0
		.amdhsa_shared_vgpr_count 0
		.amdhsa_exception_fp_ieee_invalid_op 0
		.amdhsa_exception_fp_denorm_src 0
		.amdhsa_exception_fp_ieee_div_zero 0
		.amdhsa_exception_fp_ieee_overflow 0
		.amdhsa_exception_fp_ieee_underflow 0
		.amdhsa_exception_fp_ieee_inexact 0
		.amdhsa_exception_int_div_zero 0
	.end_amdhsa_kernel
	.text
.Lfunc_end0:
	.size	bluestein_single_back_len1152_dim1_half_op_CI_CI, .Lfunc_end0-bluestein_single_back_len1152_dim1_half_op_CI_CI
                                        ; -- End function
	.section	.AMDGPU.csdata,"",@progbits
; Kernel info:
; codeLenInByte = 12636
; NumSgprs: 22
; NumVgprs: 76
; ScratchSize: 0
; MemoryBound: 0
; FloatMode: 240
; IeeeMode: 1
; LDSByteSize: 4608 bytes/workgroup (compile time only)
; SGPRBlocks: 2
; VGPRBlocks: 9
; NumSGPRsForWavesPerEU: 22
; NumVGPRsForWavesPerEU: 76
; Occupancy: 12
; WaveLimiterHint : 1
; COMPUTE_PGM_RSRC2:SCRATCH_EN: 0
; COMPUTE_PGM_RSRC2:USER_SGPR: 6
; COMPUTE_PGM_RSRC2:TRAP_HANDLER: 0
; COMPUTE_PGM_RSRC2:TGID_X_EN: 1
; COMPUTE_PGM_RSRC2:TGID_Y_EN: 0
; COMPUTE_PGM_RSRC2:TGID_Z_EN: 0
; COMPUTE_PGM_RSRC2:TIDIG_COMP_CNT: 0
	.text
	.p2alignl 6, 3214868480
	.fill 48, 4, 3214868480
	.type	__hip_cuid_9326ff8cda516ae8,@object ; @__hip_cuid_9326ff8cda516ae8
	.section	.bss,"aw",@nobits
	.globl	__hip_cuid_9326ff8cda516ae8
__hip_cuid_9326ff8cda516ae8:
	.byte	0                               ; 0x0
	.size	__hip_cuid_9326ff8cda516ae8, 1

	.ident	"AMD clang version 19.0.0git (https://github.com/RadeonOpenCompute/llvm-project roc-6.4.0 25133 c7fe45cf4b819c5991fe208aaa96edf142730f1d)"
	.section	".note.GNU-stack","",@progbits
	.addrsig
	.addrsig_sym __hip_cuid_9326ff8cda516ae8
	.amdgpu_metadata
---
amdhsa.kernels:
  - .args:
      - .actual_access:  read_only
        .address_space:  global
        .offset:         0
        .size:           8
        .value_kind:     global_buffer
      - .actual_access:  read_only
        .address_space:  global
        .offset:         8
        .size:           8
        .value_kind:     global_buffer
      - .actual_access:  read_only
        .address_space:  global
        .offset:         16
        .size:           8
        .value_kind:     global_buffer
      - .actual_access:  read_only
        .address_space:  global
        .offset:         24
        .size:           8
        .value_kind:     global_buffer
      - .actual_access:  read_only
        .address_space:  global
        .offset:         32
        .size:           8
        .value_kind:     global_buffer
      - .offset:         40
        .size:           8
        .value_kind:     by_value
      - .address_space:  global
        .offset:         48
        .size:           8
        .value_kind:     global_buffer
      - .address_space:  global
        .offset:         56
        .size:           8
        .value_kind:     global_buffer
      - .address_space:  global
        .offset:         64
        .size:           8
        .value_kind:     global_buffer
      - .address_space:  global
        .offset:         72
        .size:           8
        .value_kind:     global_buffer
      - .offset:         80
        .size:           4
        .value_kind:     by_value
      - .address_space:  global
        .offset:         88
        .size:           8
        .value_kind:     global_buffer
      - .address_space:  global
        .offset:         96
        .size:           8
        .value_kind:     global_buffer
    .group_segment_fixed_size: 4608
    .kernarg_segment_align: 8
    .kernarg_segment_size: 104
    .language:       OpenCL C
    .language_version:
      - 2
      - 0
    .max_flat_workgroup_size: 144
    .name:           bluestein_single_back_len1152_dim1_half_op_CI_CI
    .private_segment_fixed_size: 0
    .sgpr_count:     22
    .sgpr_spill_count: 0
    .symbol:         bluestein_single_back_len1152_dim1_half_op_CI_CI.kd
    .uniform_work_group_size: 1
    .uses_dynamic_stack: false
    .vgpr_count:     76
    .vgpr_spill_count: 0
    .wavefront_size: 32
    .workgroup_processor_mode: 1
amdhsa.target:   amdgcn-amd-amdhsa--gfx1030
amdhsa.version:
  - 1
  - 2
...

	.end_amdgpu_metadata
